;; amdgpu-corpus repo=ROCm/rocSPARSE kind=compiled arch=gfx1030 opt=O3
	.amdgcn_target "amdgcn-amd-amdhsa--gfx1030"
	.amdhsa_code_object_version 6
	.section	.text._ZN9rocsparseL23csric0_binsearch_kernelILj256ELj64ELb1EfEEviPKiS2_PT2_S2_PiS2_S5_S5_d21rocsparse_index_base_,"axG",@progbits,_ZN9rocsparseL23csric0_binsearch_kernelILj256ELj64ELb1EfEEviPKiS2_PT2_S2_PiS2_S5_S5_d21rocsparse_index_base_,comdat
	.globl	_ZN9rocsparseL23csric0_binsearch_kernelILj256ELj64ELb1EfEEviPKiS2_PT2_S2_PiS2_S5_S5_d21rocsparse_index_base_ ; -- Begin function _ZN9rocsparseL23csric0_binsearch_kernelILj256ELj64ELb1EfEEviPKiS2_PT2_S2_PiS2_S5_S5_d21rocsparse_index_base_
	.p2align	8
	.type	_ZN9rocsparseL23csric0_binsearch_kernelILj256ELj64ELb1EfEEviPKiS2_PT2_S2_PiS2_S5_S5_d21rocsparse_index_base_,@function
_ZN9rocsparseL23csric0_binsearch_kernelILj256ELj64ELb1EfEEviPKiS2_PT2_S2_PiS2_S5_S5_d21rocsparse_index_base_: ; @_ZN9rocsparseL23csric0_binsearch_kernelILj256ELj64ELb1EfEEviPKiS2_PT2_S2_PiS2_S5_S5_d21rocsparse_index_base_
; %bb.0:
	s_load_dword s0, s[4:5], 0x0
	v_lshrrev_b32_e32 v1, 6, v0
	s_lshl_b32 s1, s6, 2
	v_and_or_b32 v1, 0x3fffffc, s1, v1
	s_waitcnt lgkmcnt(0)
	v_cmp_gt_i32_e32 vcc_lo, s0, v1
	s_and_saveexec_b32 s0, vcc_lo
	s_cbranch_execz .LBB0_49
; %bb.1:
	s_load_dwordx8 s[8:15], s[4:5], 0x18
	v_lshlrev_b32_e32 v1, 2, v1
	v_and_b32_e32 v14, 63, v0
	v_mov_b32_e32 v0, 0
	s_mov_b32 s20, exec_lo
	s_waitcnt lgkmcnt(0)
	global_load_dword v3, v1, s[14:15]
	s_load_dwordx2 s[14:15], s[4:5], 0x8
	s_waitcnt vmcnt(0)
	v_ashrrev_i32_e32 v4, 31, v3
	v_lshlrev_b64 v[1:2], 2, v[3:4]
	s_waitcnt lgkmcnt(0)
	v_add_co_u32 v5, vcc_lo, s14, v1
	v_add_co_ci_u32_e64 v6, null, s15, v2, vcc_lo
	v_add_co_u32 v7, vcc_lo, s10, v1
	v_add_co_ci_u32_e64 v8, null, s11, v2, vcc_lo
	global_load_dword v9, v[5:6], off
	global_load_dword v4, v[7:8], off
	s_clause 0x2
	s_load_dword s3, s[4:5], 0x50
	s_load_dwordx4 s[16:19], s[4:5], 0x38
	s_load_dwordx2 s[6:7], s[4:5], 0x48
	s_waitcnt vmcnt(1) lgkmcnt(0)
	v_subrev_nc_u32_e32 v15, s3, v9
	s_waitcnt vmcnt(0)
	v_cmpx_lt_i32_e64 v15, v4
	s_cbranch_execz .LBB0_36
; %bb.2:
	global_load_dword v5, v[5:6], off offset:4
	s_load_dwordx2 s[4:5], s[4:5], 0x10
	v_add_nc_u32_e32 v16, -1, v4
	v_cmp_eq_u32_e64 s0, 0, v14
	v_subrev_nc_u32_e32 v17, s3, v14
	v_cmp_eq_u32_e64 s1, 63, v14
	v_mov_b32_e32 v18, 0
	v_mbcnt_lo_u32_b32 v19, -1, 0
	v_mov_b32_e32 v0, 0
	s_mov_b32 s21, 0
	s_waitcnt vmcnt(0)
	v_xad_u32 v20, s3, -1, v5
	v_mov_b32_e32 v5, v15
	s_branch .LBB0_5
.LBB0_3:                                ;   in Loop: Header=BB0_5 Depth=1
	s_or_b32 exec_lo, exec_lo, s23
.LBB0_4:                                ;   in Loop: Header=BB0_5 Depth=1
	s_or_b32 exec_lo, exec_lo, s22
	v_add_nc_u32_e32 v5, 1, v5
	s_xor_b32 s2, s2, -1
	v_cmp_ge_i32_e32 vcc_lo, v5, v4
	s_or_b32 s2, s2, vcc_lo
	s_and_b32 s2, exec_lo, s2
	s_or_b32 s21, s2, s21
	s_andn2_b32 exec_lo, exec_lo, s21
	s_cbranch_execz .LBB0_35
.LBB0_5:                                ; =>This Loop Header: Depth=1
                                        ;     Child Loop BB0_8 Depth 2
                                        ;       Child Loop BB0_9 Depth 3
                                        ;     Child Loop BB0_13 Depth 2
                                        ;     Child Loop BB0_20 Depth 2
	;; [unrolled: 1-line block ×3, first 2 shown]
                                        ;       Child Loop BB0_28 Depth 3
	v_ashrrev_i32_e32 v6, 31, v5
	s_mov_b32 s2, exec_lo
	v_lshlrev_b64 v[6:7], 2, v[5:6]
	s_waitcnt lgkmcnt(0)
	v_add_co_u32 v8, vcc_lo, s4, v6
	v_add_co_ci_u32_e64 v9, null, s5, v7, vcc_lo
	v_add_co_u32 v6, vcc_lo, s8, v6
	v_add_co_ci_u32_e64 v7, null, s9, v7, vcc_lo
	global_load_dword v10, v[8:9], off
	s_waitcnt vmcnt(0)
	v_subrev_nc_u32_e32 v8, s3, v10
	v_ashrrev_i32_e32 v9, 31, v8
	v_lshlrev_b64 v[8:9], 2, v[8:9]
	v_add_co_u32 v11, vcc_lo, s14, v8
	v_add_co_ci_u32_e64 v12, null, s15, v9, vcc_lo
	v_add_co_u32 v22, vcc_lo, s10, v8
	v_add_co_ci_u32_e64 v23, null, s11, v9, vcc_lo
	;; [unrolled: 2-line block ×3, first 2 shown]
	global_load_dword v21, v[6:7], off
	global_load_dword v11, v[11:12], off
	;; [unrolled: 1-line block ×3, first 2 shown]
	global_load_dword v13, v[8:9], off glc dlc
	s_waitcnt vmcnt(0)
	v_cmpx_eq_u32_e32 0, v13
	s_cbranch_execz .LBB0_10
; %bb.6:                                ;   in Loop: Header=BB0_5 Depth=1
	s_mov_b32 s22, 0
	s_mov_b32 s23, 0
	s_branch .LBB0_8
	.p2align	6
.LBB0_7:                                ;   in Loop: Header=BB0_8 Depth=2
	global_load_dword v13, v[8:9], off glc dlc
	s_cmpk_lt_u32 s23, 0xf43
	s_cselect_b32 s24, -1, 0
	s_cmp_lg_u32 s24, 0
	s_addc_u32 s23, s23, 0
	s_waitcnt vmcnt(0)
	v_cmp_ne_u32_e32 vcc_lo, 0, v13
	s_or_b32 s22, vcc_lo, s22
	s_andn2_b32 exec_lo, exec_lo, s22
	s_cbranch_execz .LBB0_10
.LBB0_8:                                ;   Parent Loop BB0_5 Depth=1
                                        ; =>  This Loop Header: Depth=2
                                        ;       Child Loop BB0_9 Depth 3
	s_cmp_eq_u32 s23, 0
	s_mov_b32 s24, s23
	s_cbranch_scc1 .LBB0_7
.LBB0_9:                                ;   Parent Loop BB0_5 Depth=1
                                        ;     Parent Loop BB0_8 Depth=2
                                        ; =>    This Inner Loop Header: Depth=3
	s_add_i32 s24, s24, -1
	s_sleep 1
	s_cmp_eq_u32 s24, 0
	s_cbranch_scc0 .LBB0_9
	s_branch .LBB0_7
.LBB0_10:                               ;   in Loop: Header=BB0_5 Depth=1
	s_or_b32 exec_lo, exec_lo, s2
	v_cmp_eq_u32_e32 vcc_lo, -1, v12
	buffer_gl1_inv
	buffer_gl0_inv
	s_mov_b32 s22, exec_lo
	v_cndmask_b32_e32 v8, v12, v16, vcc_lo
	v_ashrrev_i32_e32 v9, 31, v8
	v_lshlrev_b64 v[12:13], 2, v[8:9]
	v_add_co_u32 v12, vcc_lo, s8, v12
	v_add_co_ci_u32_e64 v13, null, s9, v13, vcc_lo
	global_load_dword v22, v[12:13], off
	s_waitcnt vmcnt(0)
	v_cmp_neq_f32_e64 s2, 0, v22
	v_cmpx_eq_f32_e32 0, v22
	s_xor_b32 s22, exec_lo, s22
	s_cbranch_execz .LBB0_17
; %bb.11:                               ;   in Loop: Header=BB0_5 Depth=1
	s_and_saveexec_b32 s23, s0
	s_cbranch_execz .LBB0_16
; %bb.12:                               ;   in Loop: Header=BB0_5 Depth=1
	s_mov_b32 s25, exec_lo
	s_brev_b32 s24, -2
.LBB0_13:                               ;   Parent Loop BB0_5 Depth=1
                                        ; =>  This Inner Loop Header: Depth=2
	s_ff1_i32_b32 s26, s25
	v_readlane_b32 s27, v10, s26
	s_lshl_b32 s26, 1, s26
	s_andn2_b32 s25, s25, s26
	s_min_i32 s24, s24, s27
	s_cmp_lg_u32 s25, 0
	s_cbranch_scc1 .LBB0_13
; %bb.14:                               ;   in Loop: Header=BB0_5 Depth=1
	v_mbcnt_lo_u32_b32 v6, exec_lo, 0
	s_mov_b32 s25, exec_lo
	v_cmpx_eq_u32_e32 0, v6
	s_xor_b32 s25, exec_lo, s25
	s_cbranch_execz .LBB0_16
; %bb.15:                               ;   in Loop: Header=BB0_5 Depth=1
	v_mov_b32_e32 v6, s24
	global_atomic_smin v18, v6, s[16:17]
.LBB0_16:                               ;   in Loop: Header=BB0_5 Depth=1
	s_or_b32 exec_lo, exec_lo, s23
                                        ; implicit-def: $vgpr22
                                        ; implicit-def: $vgpr21
                                        ; implicit-def: $vgpr6_vgpr7
                                        ; implicit-def: $vgpr11
                                        ; implicit-def: $vgpr8
                                        ; implicit-def: $vgpr10
.LBB0_17:                               ;   in Loop: Header=BB0_5 Depth=1
	s_andn2_saveexec_b32 s22, s22
	s_cbranch_execz .LBB0_4
; %bb.18:                               ;   in Loop: Header=BB0_5 Depth=1
	v_cvt_f64_f32_e32 v[12:13], v22
	v_cmp_ge_f64_e32 vcc_lo, s[6:7], v[12:13]
	s_and_b32 s24, s0, vcc_lo
	s_and_saveexec_b32 s23, s24
	s_cbranch_execz .LBB0_23
; %bb.19:                               ;   in Loop: Header=BB0_5 Depth=1
	s_mov_b32 s25, exec_lo
	s_brev_b32 s24, -2
.LBB0_20:                               ;   Parent Loop BB0_5 Depth=1
                                        ; =>  This Inner Loop Header: Depth=2
	s_ff1_i32_b32 s26, s25
	v_readlane_b32 s27, v10, s26
	s_lshl_b32 s26, 1, s26
	s_andn2_b32 s25, s25, s26
	s_min_i32 s24, s24, s27
	s_cmp_lg_u32 s25, 0
	s_cbranch_scc1 .LBB0_20
; %bb.21:                               ;   in Loop: Header=BB0_5 Depth=1
	v_mbcnt_lo_u32_b32 v9, exec_lo, 0
	s_mov_b32 s25, exec_lo
	v_cmpx_eq_u32_e32 0, v9
	s_xor_b32 s25, exec_lo, s25
	s_cbranch_execz .LBB0_23
; %bb.22:                               ;   in Loop: Header=BB0_5 Depth=1
	v_mov_b32_e32 v9, s24
	global_atomic_smin v18, v9, s[18:19]
.LBB0_23:                               ;   in Loop: Header=BB0_5 Depth=1
	s_or_b32 exec_lo, exec_lo, s23
	v_add_nc_u32_e32 v9, v17, v11
	v_mov_b32_e32 v23, 0
	s_mov_b32 s23, exec_lo
	v_cmpx_lt_i32_e64 v9, v8
	s_cbranch_execz .LBB0_33
; %bb.24:                               ;   in Loop: Header=BB0_5 Depth=1
	v_mov_b32_e32 v23, 0
	v_mov_b32_e32 v24, v15
	s_mov_b32 s24, 0
	s_branch .LBB0_26
.LBB0_25:                               ;   in Loop: Header=BB0_26 Depth=2
	s_or_b32 exec_lo, exec_lo, s25
	v_add_nc_u32_e32 v9, 64, v9
	v_cmp_ge_i32_e32 vcc_lo, v9, v8
	s_or_b32 s24, vcc_lo, s24
	s_andn2_b32 exec_lo, exec_lo, s24
	s_cbranch_execz .LBB0_32
.LBB0_26:                               ;   Parent Loop BB0_5 Depth=1
                                        ; =>  This Loop Header: Depth=2
                                        ;       Child Loop BB0_28 Depth 3
	v_add_nc_u32_e32 v10, v24, v20
	s_mov_b32 s25, exec_lo
	v_ashrrev_i32_e32 v12, 1, v10
	v_ashrrev_i32_e32 v10, 31, v9
	;; [unrolled: 1-line block ×3, first 2 shown]
	v_lshlrev_b64 v[10:11], 2, v[9:10]
	v_lshlrev_b64 v[25:26], 2, v[12:13]
	v_add_co_u32 v27, vcc_lo, s4, v10
	v_add_co_ci_u32_e64 v28, null, s5, v11, vcc_lo
	v_add_co_u32 v29, vcc_lo, s4, v25
	v_add_co_ci_u32_e64 v30, null, s5, v26, vcc_lo
	s_clause 0x1
	global_load_dword v25, v[27:28], off
	global_load_dword v26, v[29:30], off
	v_cmpx_lt_i32_e64 v24, v20
	s_cbranch_execz .LBB0_30
; %bb.27:                               ;   in Loop: Header=BB0_26 Depth=2
	v_mov_b32_e32 v27, v20
	s_mov_b32 s26, 0
	.p2align	6
.LBB0_28:                               ;   Parent Loop BB0_5 Depth=1
                                        ;     Parent Loop BB0_26 Depth=2
                                        ; =>    This Inner Loop Header: Depth=3
	v_add_nc_u32_e32 v13, 1, v12
	s_waitcnt vmcnt(0)
	v_cmp_lt_i32_e32 vcc_lo, v26, v25
	v_cndmask_b32_e32 v24, v24, v13, vcc_lo
	v_cndmask_b32_e32 v27, v12, v27, vcc_lo
	v_add_nc_u32_e32 v12, v27, v24
	v_ashrrev_i32_e32 v12, 1, v12
	v_ashrrev_i32_e32 v13, 31, v12
	v_lshlrev_b64 v[28:29], 2, v[12:13]
	v_add_co_u32 v28, vcc_lo, s4, v28
	v_add_co_ci_u32_e64 v29, null, s5, v29, vcc_lo
	v_cmp_ge_i32_e32 vcc_lo, v24, v27
	global_load_dword v26, v[28:29], off
	s_or_b32 s26, vcc_lo, s26
	s_andn2_b32 exec_lo, exec_lo, s26
	s_cbranch_execnz .LBB0_28
; %bb.29:                               ;   in Loop: Header=BB0_26 Depth=2
	s_or_b32 exec_lo, exec_lo, s26
.LBB0_30:                               ;   in Loop: Header=BB0_26 Depth=2
	s_or_b32 exec_lo, exec_lo, s25
	s_mov_b32 s25, exec_lo
	s_waitcnt vmcnt(0)
	v_cmpx_eq_u32_e64 v26, v25
	s_cbranch_execz .LBB0_25
; %bb.31:                               ;   in Loop: Header=BB0_26 Depth=2
	v_lshlrev_b64 v[12:13], 2, v[12:13]
	v_add_co_u32 v10, vcc_lo, s8, v10
	v_add_co_ci_u32_e64 v11, null, s9, v11, vcc_lo
	v_add_co_u32 v12, vcc_lo, s8, v12
	v_add_co_ci_u32_e64 v13, null, s9, v13, vcc_lo
	s_clause 0x1
	global_load_dword v10, v[10:11], off
	global_load_dword v11, v[12:13], off
	s_waitcnt vmcnt(0)
	v_fmac_f32_e32 v23, v10, v11
	s_branch .LBB0_25
.LBB0_32:                               ;   in Loop: Header=BB0_5 Depth=1
	s_or_b32 exec_lo, exec_lo, s24
.LBB0_33:                               ;   in Loop: Header=BB0_5 Depth=1
	s_or_b32 exec_lo, exec_lo, s23
	v_or_b32_e32 v8, 32, v19
	v_xor_b32_e32 v9, 16, v19
	v_xor_b32_e32 v10, 8, v19
	v_cmp_gt_i32_e32 vcc_lo, 32, v8
	v_cndmask_b32_e32 v8, v19, v8, vcc_lo
	v_cmp_gt_i32_e32 vcc_lo, 32, v9
	v_lshlrev_b32_e32 v8, 2, v8
	v_cndmask_b32_e32 v9, v19, v9, vcc_lo
	v_cmp_gt_i32_e32 vcc_lo, 32, v10
	ds_bpermute_b32 v8, v8, v23
	v_lshlrev_b32_e32 v9, 2, v9
	v_cndmask_b32_e32 v10, v19, v10, vcc_lo
	v_lshlrev_b32_e32 v10, 2, v10
	s_waitcnt lgkmcnt(0)
	v_add_f32_e32 v8, v23, v8
	ds_bpermute_b32 v9, v9, v8
	s_waitcnt lgkmcnt(0)
	v_add_f32_e32 v8, v8, v9
	ds_bpermute_b32 v9, v10, v8
	v_xor_b32_e32 v10, 4, v19
	v_cmp_gt_i32_e32 vcc_lo, 32, v10
	v_cndmask_b32_e32 v10, v19, v10, vcc_lo
	v_lshlrev_b32_e32 v10, 2, v10
	s_waitcnt lgkmcnt(0)
	v_add_f32_e32 v8, v8, v9
	ds_bpermute_b32 v9, v10, v8
	v_xor_b32_e32 v10, 2, v19
	v_cmp_gt_i32_e32 vcc_lo, 32, v10
	v_cndmask_b32_e32 v10, v19, v10, vcc_lo
	v_lshlrev_b32_e32 v10, 2, v10
	s_waitcnt lgkmcnt(0)
	v_add_f32_e32 v8, v8, v9
	ds_bpermute_b32 v9, v10, v8
	v_xor_b32_e32 v10, 1, v19
	v_cmp_gt_i32_e32 vcc_lo, 32, v10
	v_cndmask_b32_e32 v10, v19, v10, vcc_lo
	s_waitcnt lgkmcnt(0)
	v_add_f32_e32 v8, v8, v9
	v_lshlrev_b32_e32 v9, 2, v10
	ds_bpermute_b32 v9, v9, v8
	s_and_saveexec_b32 s23, s1
	s_cbranch_execz .LBB0_3
; %bb.34:                               ;   in Loop: Header=BB0_5 Depth=1
	v_div_scale_f32 v10, null, v22, v22, 1.0
	v_div_scale_f32 v13, vcc_lo, 1.0, v22, 1.0
	s_waitcnt lgkmcnt(0)
	v_add_f32_e32 v8, v8, v9
	v_rcp_f32_e32 v11, v10
	v_sub_f32_e32 v8, v21, v8
	v_fma_f32 v12, -v10, v11, 1.0
	v_fmac_f32_e32 v11, v12, v11
	v_mul_f32_e32 v12, v13, v11
	v_fma_f32 v23, -v10, v12, v13
	v_fmac_f32_e32 v12, v23, v11
	v_fma_f32 v10, -v10, v12, v13
	v_div_fmas_f32 v10, v10, v11, v12
	v_div_fixup_f32 v9, v10, v22, 1.0
	v_mul_f32_e32 v8, v9, v8
	v_fmac_f32_e32 v0, v8, v8
	global_store_dword v[6:7], v8, off
	s_branch .LBB0_3
.LBB0_35:
	s_or_b32 exec_lo, exec_lo, s21
.LBB0_36:
	s_or_b32 exec_lo, exec_lo, s20
	v_cmp_eq_u32_e32 vcc_lo, 63, v14
	v_cmp_lt_i32_e64 s0, -1, v4
	s_and_b32 s0, vcc_lo, s0
	s_and_saveexec_b32 s2, s0
	s_cbranch_execz .LBB0_47
; %bb.37:
	v_mov_b32_e32 v5, 0
	s_mov_b32 s1, exec_lo
	v_lshlrev_b64 v[4:5], 2, v[4:5]
	v_add_co_u32 v4, s0, s8, v4
	v_add_co_ci_u32_e64 v5, null, s9, v5, s0
	global_load_dword v6, v[4:5], off
	s_waitcnt vmcnt(0)
	v_sub_f32_e32 v0, v6, v0
	v_mul_f64 v[6:7], s[6:7], s[6:7]
	s_waitcnt lgkmcnt(0)
	v_cvt_f64_f32_e32 v[8:9], v0
	v_cmpx_ge_f64_e32 v[6:7], v[8:9]
	s_cbranch_execz .LBB0_42
; %bb.38:
	v_add_nc_u32_e32 v6, s3, v3
	s_mov_b32 s0, exec_lo
	s_brev_b32 s4, -2
.LBB0_39:                               ; =>This Inner Loop Header: Depth=1
	s_ff1_i32_b32 s5, s0
	v_readlane_b32 s6, v6, s5
	s_lshl_b32 s5, 1, s5
	s_andn2_b32 s0, s0, s5
	s_min_i32 s4, s4, s6
	s_cmp_lg_u32 s0, 0
	s_cbranch_scc1 .LBB0_39
; %bb.40:
	v_mbcnt_lo_u32_b32 v6, exec_lo, 0
	s_mov_b32 s5, exec_lo
	v_cmpx_eq_u32_e32 0, v6
	s_xor_b32 s5, exec_lo, s5
	s_cbranch_execz .LBB0_42
; %bb.41:
	v_mov_b32_e32 v6, 0
	v_mov_b32_e32 v7, s4
	global_atomic_smin v6, v7, s[18:19]
.LBB0_42:
	s_or_b32 exec_lo, exec_lo, s1
	v_cmp_gt_f32_e64 s0, 0, v0
	v_cndmask_b32_e64 v6, v0, -v0, s0
	v_mul_f32_e32 v7, 0x4f800000, v6
	v_cmp_gt_f32_e64 s0, 0xf800000, v6
	v_cndmask_b32_e64 v6, v6, v7, s0
	v_sqrt_f32_e32 v7, v6
	v_add_nc_u32_e32 v8, -1, v7
	v_add_nc_u32_e32 v9, 1, v7
	v_fma_f32 v10, -v8, v7, v6
	v_fma_f32 v11, -v9, v7, v6
	v_cmp_ge_f32_e64 s1, 0, v10
	v_cndmask_b32_e64 v7, v7, v8, s1
	v_cmp_lt_f32_e64 s1, 0, v11
	v_cndmask_b32_e64 v7, v7, v9, s1
	v_mul_f32_e32 v8, 0x37800000, v7
	v_cndmask_b32_e64 v7, v7, v8, s0
	v_cmp_class_f32_e64 s0, v6, 0x260
	v_cndmask_b32_e64 v6, v7, v6, s0
	v_cmp_eq_f32_e64 s0, 0, v0
	global_store_dword v[4:5], v6, off
	s_and_b32 exec_lo, exec_lo, s0
	s_cbranch_execz .LBB0_47
; %bb.43:
	v_add_nc_u32_e32 v0, s3, v3
	s_mov_b32 s0, exec_lo
	s_brev_b32 s1, -2
.LBB0_44:                               ; =>This Inner Loop Header: Depth=1
	s_ff1_i32_b32 s3, s0
	v_readlane_b32 s4, v0, s3
	s_lshl_b32 s3, 1, s3
	s_andn2_b32 s0, s0, s3
	s_min_i32 s1, s1, s4
	s_cmp_lg_u32 s0, 0
	s_cbranch_scc1 .LBB0_44
; %bb.45:
	v_mbcnt_lo_u32_b32 v0, exec_lo, 0
	s_mov_b32 s3, exec_lo
	v_cmpx_eq_u32_e32 0, v0
	s_xor_b32 s3, exec_lo, s3
	s_cbranch_execz .LBB0_47
; %bb.46:
	v_mov_b32_e32 v0, 0
	v_mov_b32_e32 v3, s1
	global_atomic_smin v0, v3, s[16:17]
.LBB0_47:
	s_or_b32 exec_lo, exec_lo, s2
	s_and_b32 exec_lo, exec_lo, vcc_lo
	s_cbranch_execz .LBB0_49
; %bb.48:
	v_add_co_u32 v0, vcc_lo, s12, v1
	v_add_co_ci_u32_e64 v1, null, s13, v2, vcc_lo
	v_mov_b32_e32 v2, 1
	s_waitcnt lgkmcnt(0)
	s_waitcnt_vscnt null, 0x0
	global_store_dword v[0:1], v2, off
.LBB0_49:
	s_endpgm
	.section	.rodata,"a",@progbits
	.p2align	6, 0x0
	.amdhsa_kernel _ZN9rocsparseL23csric0_binsearch_kernelILj256ELj64ELb1EfEEviPKiS2_PT2_S2_PiS2_S5_S5_d21rocsparse_index_base_
		.amdhsa_group_segment_fixed_size 0
		.amdhsa_private_segment_fixed_size 0
		.amdhsa_kernarg_size 84
		.amdhsa_user_sgpr_count 6
		.amdhsa_user_sgpr_private_segment_buffer 1
		.amdhsa_user_sgpr_dispatch_ptr 0
		.amdhsa_user_sgpr_queue_ptr 0
		.amdhsa_user_sgpr_kernarg_segment_ptr 1
		.amdhsa_user_sgpr_dispatch_id 0
		.amdhsa_user_sgpr_flat_scratch_init 0
		.amdhsa_user_sgpr_private_segment_size 0
		.amdhsa_wavefront_size32 1
		.amdhsa_uses_dynamic_stack 0
		.amdhsa_system_sgpr_private_segment_wavefront_offset 0
		.amdhsa_system_sgpr_workgroup_id_x 1
		.amdhsa_system_sgpr_workgroup_id_y 0
		.amdhsa_system_sgpr_workgroup_id_z 0
		.amdhsa_system_sgpr_workgroup_info 0
		.amdhsa_system_vgpr_workitem_id 0
		.amdhsa_next_free_vgpr 31
		.amdhsa_next_free_sgpr 28
		.amdhsa_reserve_vcc 1
		.amdhsa_reserve_flat_scratch 0
		.amdhsa_float_round_mode_32 0
		.amdhsa_float_round_mode_16_64 0
		.amdhsa_float_denorm_mode_32 3
		.amdhsa_float_denorm_mode_16_64 3
		.amdhsa_dx10_clamp 1
		.amdhsa_ieee_mode 1
		.amdhsa_fp16_overflow 0
		.amdhsa_workgroup_processor_mode 1
		.amdhsa_memory_ordered 1
		.amdhsa_forward_progress 1
		.amdhsa_shared_vgpr_count 0
		.amdhsa_exception_fp_ieee_invalid_op 0
		.amdhsa_exception_fp_denorm_src 0
		.amdhsa_exception_fp_ieee_div_zero 0
		.amdhsa_exception_fp_ieee_overflow 0
		.amdhsa_exception_fp_ieee_underflow 0
		.amdhsa_exception_fp_ieee_inexact 0
		.amdhsa_exception_int_div_zero 0
	.end_amdhsa_kernel
	.section	.text._ZN9rocsparseL23csric0_binsearch_kernelILj256ELj64ELb1EfEEviPKiS2_PT2_S2_PiS2_S5_S5_d21rocsparse_index_base_,"axG",@progbits,_ZN9rocsparseL23csric0_binsearch_kernelILj256ELj64ELb1EfEEviPKiS2_PT2_S2_PiS2_S5_S5_d21rocsparse_index_base_,comdat
.Lfunc_end0:
	.size	_ZN9rocsparseL23csric0_binsearch_kernelILj256ELj64ELb1EfEEviPKiS2_PT2_S2_PiS2_S5_S5_d21rocsparse_index_base_, .Lfunc_end0-_ZN9rocsparseL23csric0_binsearch_kernelILj256ELj64ELb1EfEEviPKiS2_PT2_S2_PiS2_S5_S5_d21rocsparse_index_base_
                                        ; -- End function
	.set _ZN9rocsparseL23csric0_binsearch_kernelILj256ELj64ELb1EfEEviPKiS2_PT2_S2_PiS2_S5_S5_d21rocsparse_index_base_.num_vgpr, 31
	.set _ZN9rocsparseL23csric0_binsearch_kernelILj256ELj64ELb1EfEEviPKiS2_PT2_S2_PiS2_S5_S5_d21rocsparse_index_base_.num_agpr, 0
	.set _ZN9rocsparseL23csric0_binsearch_kernelILj256ELj64ELb1EfEEviPKiS2_PT2_S2_PiS2_S5_S5_d21rocsparse_index_base_.numbered_sgpr, 28
	.set _ZN9rocsparseL23csric0_binsearch_kernelILj256ELj64ELb1EfEEviPKiS2_PT2_S2_PiS2_S5_S5_d21rocsparse_index_base_.num_named_barrier, 0
	.set _ZN9rocsparseL23csric0_binsearch_kernelILj256ELj64ELb1EfEEviPKiS2_PT2_S2_PiS2_S5_S5_d21rocsparse_index_base_.private_seg_size, 0
	.set _ZN9rocsparseL23csric0_binsearch_kernelILj256ELj64ELb1EfEEviPKiS2_PT2_S2_PiS2_S5_S5_d21rocsparse_index_base_.uses_vcc, 1
	.set _ZN9rocsparseL23csric0_binsearch_kernelILj256ELj64ELb1EfEEviPKiS2_PT2_S2_PiS2_S5_S5_d21rocsparse_index_base_.uses_flat_scratch, 0
	.set _ZN9rocsparseL23csric0_binsearch_kernelILj256ELj64ELb1EfEEviPKiS2_PT2_S2_PiS2_S5_S5_d21rocsparse_index_base_.has_dyn_sized_stack, 0
	.set _ZN9rocsparseL23csric0_binsearch_kernelILj256ELj64ELb1EfEEviPKiS2_PT2_S2_PiS2_S5_S5_d21rocsparse_index_base_.has_recursion, 0
	.set _ZN9rocsparseL23csric0_binsearch_kernelILj256ELj64ELb1EfEEviPKiS2_PT2_S2_PiS2_S5_S5_d21rocsparse_index_base_.has_indirect_call, 0
	.section	.AMDGPU.csdata,"",@progbits
; Kernel info:
; codeLenInByte = 2064
; TotalNumSgprs: 30
; NumVgprs: 31
; ScratchSize: 0
; MemoryBound: 0
; FloatMode: 240
; IeeeMode: 1
; LDSByteSize: 0 bytes/workgroup (compile time only)
; SGPRBlocks: 0
; VGPRBlocks: 3
; NumSGPRsForWavesPerEU: 30
; NumVGPRsForWavesPerEU: 31
; Occupancy: 16
; WaveLimiterHint : 1
; COMPUTE_PGM_RSRC2:SCRATCH_EN: 0
; COMPUTE_PGM_RSRC2:USER_SGPR: 6
; COMPUTE_PGM_RSRC2:TRAP_HANDLER: 0
; COMPUTE_PGM_RSRC2:TGID_X_EN: 1
; COMPUTE_PGM_RSRC2:TGID_Y_EN: 0
; COMPUTE_PGM_RSRC2:TGID_Z_EN: 0
; COMPUTE_PGM_RSRC2:TIDIG_COMP_CNT: 0
	.section	.text._ZN9rocsparseL18csric0_hash_kernelILj256ELj32ELj1EfEEviPKiS2_PT2_S2_PiS2_S5_S5_d21rocsparse_index_base_,"axG",@progbits,_ZN9rocsparseL18csric0_hash_kernelILj256ELj32ELj1EfEEviPKiS2_PT2_S2_PiS2_S5_S5_d21rocsparse_index_base_,comdat
	.globl	_ZN9rocsparseL18csric0_hash_kernelILj256ELj32ELj1EfEEviPKiS2_PT2_S2_PiS2_S5_S5_d21rocsparse_index_base_ ; -- Begin function _ZN9rocsparseL18csric0_hash_kernelILj256ELj32ELj1EfEEviPKiS2_PT2_S2_PiS2_S5_S5_d21rocsparse_index_base_
	.p2align	8
	.type	_ZN9rocsparseL18csric0_hash_kernelILj256ELj32ELj1EfEEviPKiS2_PT2_S2_PiS2_S5_S5_d21rocsparse_index_base_,@function
_ZN9rocsparseL18csric0_hash_kernelILj256ELj32ELj1EfEEviPKiS2_PT2_S2_PiS2_S5_S5_d21rocsparse_index_base_: ; @_ZN9rocsparseL18csric0_hash_kernelILj256ELj32ELj1EfEEviPKiS2_PT2_S2_PiS2_S5_S5_d21rocsparse_index_base_
; %bb.0:
	s_load_dword s0, s[4:5], 0x0
	v_and_b32_e32 v6, 0xe0, v0
	v_lshrrev_b32_e32 v1, 5, v0
	s_lshl_b32 s1, s6, 3
	v_and_b32_e32 v11, 31, v0
	v_mov_b32_e32 v2, -1
	v_lshl_or_b32 v12, v6, 2, 0x400
	v_and_or_b32 v0, 0x7fffff8, s1, v1
	v_lshl_or_b32 v1, v11, 2, v12
	ds_write_b32 v1, v2
	s_waitcnt lgkmcnt(0)
	buffer_gl0_inv
	v_cmp_gt_i32_e32 vcc_lo, s0, v0
	s_and_saveexec_b32 s0, vcc_lo
	s_cbranch_execz .LBB1_46
; %bb.1:
	s_load_dwordx8 s[8:15], s[4:5], 0x28
	v_lshlrev_b32_e32 v0, 2, v0
	s_clause 0x1
	s_load_dwordx8 s[16:23], s[4:5], 0x8
	s_load_dword s2, s[4:5], 0x50
	v_lshlrev_b32_e32 v13, 2, v6
	s_mov_b32 s0, exec_lo
	s_waitcnt lgkmcnt(0)
	global_load_dword v2, v0, s[10:11]
	s_waitcnt vmcnt(0)
	v_ashrrev_i32_e32 v3, 31, v2
	v_lshlrev_b64 v[0:1], 2, v[2:3]
	v_add_co_u32 v3, vcc_lo, s16, v0
	v_add_co_ci_u32_e64 v4, null, s17, v1, vcc_lo
	v_add_co_u32 v7, vcc_lo, s22, v0
	v_add_co_ci_u32_e64 v8, null, s23, v1, vcc_lo
	global_load_dwordx2 v[4:5], v[3:4], off
	global_load_dword v3, v[7:8], off
	s_waitcnt vmcnt(1)
	v_subrev_nc_u32_e32 v4, s2, v4
	v_subrev_nc_u32_e32 v7, s2, v5
	v_add_nc_u32_e32 v5, v4, v11
	v_cmpx_lt_i32_e64 v5, v7
	s_cbranch_execz .LBB1_11
; %bb.2:
	v_mov_b32_e32 v8, -1
	s_mov_b32 s1, 0
	s_branch .LBB1_4
.LBB1_3:                                ;   in Loop: Header=BB1_4 Depth=1
	s_or_b32 exec_lo, exec_lo, s3
	v_add_nc_u32_e32 v5, 32, v5
	v_cmp_ge_i32_e32 vcc_lo, v5, v7
	s_or_b32 s1, vcc_lo, s1
	s_andn2_b32 exec_lo, exec_lo, s1
	s_cbranch_execz .LBB1_11
.LBB1_4:                                ; =>This Loop Header: Depth=1
                                        ;     Child Loop BB1_7 Depth 2
	v_ashrrev_i32_e32 v6, 31, v5
	s_mov_b32 s3, exec_lo
	v_lshlrev_b64 v[9:10], 2, v[5:6]
	v_add_co_u32 v9, vcc_lo, s18, v9
	v_add_co_ci_u32_e64 v10, null, s19, v10, vcc_lo
	global_load_dword v6, v[9:10], off
	s_waitcnt vmcnt(0)
	v_mul_lo_u32 v9, v6, 7
	v_and_b32_e32 v9, 31, v9
	v_lshl_add_u32 v10, v9, 2, v12
	ds_read_b32 v14, v10
	s_waitcnt lgkmcnt(0)
	v_cmpx_ne_u32_e64 v14, v6
	s_cbranch_execz .LBB1_3
; %bb.5:                                ;   in Loop: Header=BB1_4 Depth=1
	s_mov_b32 s6, 0
                                        ; implicit-def: $sgpr7
                                        ; implicit-def: $sgpr11
                                        ; implicit-def: $sgpr10
	s_inst_prefetch 0x1
	s_branch .LBB1_7
	.p2align	6
.LBB1_6:                                ;   in Loop: Header=BB1_7 Depth=2
	s_or_b32 exec_lo, exec_lo, s24
	s_and_b32 s24, exec_lo, s11
	s_or_b32 s6, s24, s6
	s_andn2_b32 s7, s7, exec_lo
	s_and_b32 s24, s10, exec_lo
	s_or_b32 s7, s7, s24
	s_andn2_b32 exec_lo, exec_lo, s6
	s_cbranch_execz .LBB1_9
.LBB1_7:                                ;   Parent Loop BB1_4 Depth=1
                                        ; =>  This Inner Loop Header: Depth=2
	ds_cmpst_rtn_b32 v10, v10, v8, v6
	v_mov_b32_e32 v14, v9
	s_or_b32 s10, s10, exec_lo
	s_or_b32 s11, s11, exec_lo
                                        ; implicit-def: $vgpr9
	s_waitcnt lgkmcnt(0)
	v_cmp_ne_u32_e32 vcc_lo, -1, v10
                                        ; implicit-def: $vgpr10
	s_and_saveexec_b32 s24, vcc_lo
	s_cbranch_execz .LBB1_6
; %bb.8:                                ;   in Loop: Header=BB1_7 Depth=2
	v_add_nc_u32_e32 v9, 1, v14
	s_andn2_b32 s11, s11, exec_lo
	s_andn2_b32 s10, s10, exec_lo
	v_and_b32_e32 v9, 31, v9
	v_lshl_add_u32 v10, v9, 2, v12
	ds_read_b32 v15, v10
	s_waitcnt lgkmcnt(0)
	v_cmp_eq_u32_e32 vcc_lo, v15, v6
	s_and_b32 s25, vcc_lo, exec_lo
	s_or_b32 s11, s11, s25
	s_branch .LBB1_6
.LBB1_9:                                ;   in Loop: Header=BB1_4 Depth=1
	s_inst_prefetch 0x2
	s_or_b32 exec_lo, exec_lo, s6
	s_and_saveexec_b32 s6, s7
	s_xor_b32 s6, exec_lo, s6
	s_cbranch_execz .LBB1_3
; %bb.10:                               ;   in Loop: Header=BB1_4 Depth=1
	v_lshl_add_u32 v6, v14, 2, v13
	ds_write_b32 v6, v5
	s_branch .LBB1_3
.LBB1_11:
	s_or_b32 exec_lo, exec_lo, s0
	v_mov_b32_e32 v14, 0
	s_mov_b32 s3, exec_lo
	s_waitcnt vmcnt(0) lgkmcnt(0)
	buffer_gl0_inv
	v_cmpx_lt_i32_e64 v4, v3
	s_cbranch_execz .LBB1_33
; %bb.12:
	v_mbcnt_lo_u32_b32 v15, -1, 0
	v_add_nc_u32_e32 v16, -1, v3
	v_subrev_nc_u32_e32 v17, s2, v11
	v_cmp_eq_u32_e64 s0, 31, v11
	v_mov_b32_e32 v14, 0
	v_xor_b32_e32 v18, 16, v15
	v_xor_b32_e32 v19, 8, v15
	s_mov_b32 s6, 0
	s_branch .LBB1_15
.LBB1_13:                               ;   in Loop: Header=BB1_15 Depth=1
	s_or_b32 exec_lo, exec_lo, s10
.LBB1_14:                               ;   in Loop: Header=BB1_15 Depth=1
	s_or_b32 exec_lo, exec_lo, s7
	v_add_nc_u32_e32 v4, 1, v4
	s_xor_b32 s1, s1, -1
	v_cmp_ge_i32_e32 vcc_lo, v4, v3
	s_or_b32 s1, s1, vcc_lo
	s_and_b32 s1, exec_lo, s1
	s_or_b32 s6, s1, s6
	s_andn2_b32 exec_lo, exec_lo, s6
	s_cbranch_execz .LBB1_32
.LBB1_15:                               ; =>This Loop Header: Depth=1
                                        ;     Child Loop BB1_16 Depth 2
                                        ;     Child Loop BB1_22 Depth 2
                                        ;       Child Loop BB1_25 Depth 3
	v_ashrrev_i32_e32 v5, 31, v4
	s_mov_b32 s1, 0
	v_lshlrev_b64 v[5:6], 2, v[4:5]
	v_add_co_u32 v7, vcc_lo, s18, v5
	s_waitcnt lgkmcnt(0)
	v_add_co_ci_u32_e64 v8, null, s19, v6, vcc_lo
	v_add_co_u32 v5, vcc_lo, s20, v5
	v_add_co_ci_u32_e64 v6, null, s21, v6, vcc_lo
	global_load_dword v7, v[7:8], off
	s_waitcnt vmcnt(0)
	v_subrev_nc_u32_e32 v7, s2, v7
	v_ashrrev_i32_e32 v8, 31, v7
	v_lshlrev_b64 v[7:8], 2, v[7:8]
	v_add_co_u32 v9, vcc_lo, s16, v7
	v_add_co_ci_u32_e64 v10, null, s17, v8, vcc_lo
	v_add_co_u32 v21, vcc_lo, s22, v7
	v_add_co_ci_u32_e64 v22, null, s23, v8, vcc_lo
	global_load_dword v20, v[5:6], off
	global_load_dword v9, v[9:10], off
	;; [unrolled: 1-line block ×3, first 2 shown]
	v_add_co_u32 v7, vcc_lo, s8, v7
	v_add_co_ci_u32_e64 v8, null, s9, v8, vcc_lo
.LBB1_16:                               ;   Parent Loop BB1_15 Depth=1
                                        ; =>  This Inner Loop Header: Depth=2
	global_load_dword v21, v[7:8], off glc dlc
	s_waitcnt vmcnt(0)
	v_cmp_ne_u32_e32 vcc_lo, 0, v21
	s_or_b32 s1, vcc_lo, s1
	s_andn2_b32 exec_lo, exec_lo, s1
	s_cbranch_execnz .LBB1_16
; %bb.17:                               ;   in Loop: Header=BB1_15 Depth=1
	s_or_b32 exec_lo, exec_lo, s1
	v_cmp_eq_u32_e32 vcc_lo, -1, v10
	buffer_gl1_inv
	buffer_gl0_inv
	v_cndmask_b32_e32 v7, v10, v16, vcc_lo
	v_ashrrev_i32_e32 v8, 31, v7
	v_lshlrev_b64 v[21:22], 2, v[7:8]
	v_add_co_u32 v21, vcc_lo, s20, v21
	v_add_co_ci_u32_e64 v22, null, s21, v22, vcc_lo
	global_load_dword v21, v[21:22], off
	s_waitcnt vmcnt(0)
	v_cmp_neq_f32_e64 s1, 0, v21
	s_and_saveexec_b32 s7, s1
	s_cbranch_execz .LBB1_14
; %bb.18:                               ;   in Loop: Header=BB1_15 Depth=1
	v_add_nc_u32_e32 v8, v17, v9
	v_mov_b32_e32 v22, 0
	s_mov_b32 s10, exec_lo
	v_cmpx_lt_i32_e64 v8, v7
	s_cbranch_execz .LBB1_30
; %bb.19:                               ;   in Loop: Header=BB1_15 Depth=1
	v_mov_b32_e32 v22, 0
	s_mov_b32 s11, 0
	s_branch .LBB1_22
.LBB1_20:                               ;   in Loop: Header=BB1_22 Depth=2
	s_or_b32 exec_lo, exec_lo, s25
.LBB1_21:                               ;   in Loop: Header=BB1_22 Depth=2
	s_or_b32 exec_lo, exec_lo, s24
	v_add_nc_u32_e32 v8, 32, v8
	v_cmp_ge_i32_e32 vcc_lo, v8, v7
	s_or_b32 s11, vcc_lo, s11
	s_andn2_b32 exec_lo, exec_lo, s11
	s_cbranch_execz .LBB1_29
.LBB1_22:                               ;   Parent Loop BB1_15 Depth=1
                                        ; =>  This Loop Header: Depth=2
                                        ;       Child Loop BB1_25 Depth 3
	v_ashrrev_i32_e32 v9, 31, v8
	s_mov_b32 s24, exec_lo
	v_lshlrev_b64 v[9:10], 2, v[8:9]
	v_add_co_u32 v23, vcc_lo, s18, v9
	v_add_co_ci_u32_e64 v24, null, s19, v10, vcc_lo
	global_load_dword v23, v[23:24], off
	s_waitcnt vmcnt(0)
	v_mul_lo_u32 v24, v23, 7
	v_and_b32_e32 v26, 31, v24
	v_lshl_add_u32 v24, v26, 2, v12
	ds_read_b32 v25, v24
	s_waitcnt lgkmcnt(0)
	v_cmpx_ne_u32_e32 -1, v25
	s_cbranch_execz .LBB1_21
; %bb.23:                               ;   in Loop: Header=BB1_22 Depth=2
	s_mov_b32 s25, 0
                                        ; implicit-def: $sgpr26
                                        ; implicit-def: $sgpr28
                                        ; implicit-def: $sgpr27
	s_inst_prefetch 0x1
	s_branch .LBB1_25
	.p2align	6
.LBB1_24:                               ;   in Loop: Header=BB1_25 Depth=3
	s_or_b32 exec_lo, exec_lo, s29
	s_and_b32 s29, exec_lo, s28
	s_or_b32 s25, s29, s25
	s_andn2_b32 s26, s26, exec_lo
	s_and_b32 s29, s27, exec_lo
	s_or_b32 s26, s26, s29
	s_andn2_b32 exec_lo, exec_lo, s25
	s_cbranch_execz .LBB1_27
.LBB1_25:                               ;   Parent Loop BB1_15 Depth=1
                                        ;     Parent Loop BB1_22 Depth=2
                                        ; =>    This Inner Loop Header: Depth=3
	v_mov_b32_e32 v24, v26
	v_cmp_ne_u32_e32 vcc_lo, v25, v23
	s_or_b32 s27, s27, exec_lo
	s_or_b32 s28, s28, exec_lo
                                        ; implicit-def: $vgpr26
                                        ; implicit-def: $vgpr25
	s_and_saveexec_b32 s29, vcc_lo
	s_cbranch_execz .LBB1_24
; %bb.26:                               ;   in Loop: Header=BB1_25 Depth=3
	v_add_nc_u32_e32 v25, 1, v24
	s_andn2_b32 s28, s28, exec_lo
	s_andn2_b32 s27, s27, exec_lo
	v_and_b32_e32 v26, 31, v25
	v_lshl_add_u32 v25, v26, 2, v12
	ds_read_b32 v25, v25
	s_waitcnt lgkmcnt(0)
	v_cmp_eq_u32_e32 vcc_lo, -1, v25
	s_and_b32 s30, vcc_lo, exec_lo
	s_or_b32 s28, s28, s30
	s_branch .LBB1_24
.LBB1_27:                               ;   in Loop: Header=BB1_22 Depth=2
	s_inst_prefetch 0x2
	s_or_b32 exec_lo, exec_lo, s25
	s_and_saveexec_b32 s25, s26
	s_xor_b32 s25, exec_lo, s25
	s_cbranch_execz .LBB1_20
; %bb.28:                               ;   in Loop: Header=BB1_22 Depth=2
	v_lshl_add_u32 v23, v24, 2, v13
	v_add_co_u32 v9, vcc_lo, s20, v9
	v_add_co_ci_u32_e64 v10, null, s21, v10, vcc_lo
	ds_read_b32 v23, v23
	s_waitcnt lgkmcnt(0)
	v_ashrrev_i32_e32 v24, 31, v23
	v_lshlrev_b64 v[23:24], 2, v[23:24]
	v_add_co_u32 v23, vcc_lo, s20, v23
	v_add_co_ci_u32_e64 v24, null, s21, v24, vcc_lo
	s_clause 0x1
	global_load_dword v9, v[9:10], off
	global_load_dword v10, v[23:24], off
	s_waitcnt vmcnt(0)
	v_fmac_f32_e32 v22, v9, v10
	s_branch .LBB1_20
.LBB1_29:                               ;   in Loop: Header=BB1_15 Depth=1
	s_or_b32 exec_lo, exec_lo, s11
.LBB1_30:                               ;   in Loop: Header=BB1_15 Depth=1
	s_or_b32 exec_lo, exec_lo, s10
	v_cmp_gt_i32_e32 vcc_lo, 32, v18
	v_xor_b32_e32 v9, 4, v15
	v_cndmask_b32_e32 v7, v15, v18, vcc_lo
	v_cmp_gt_i32_e32 vcc_lo, 32, v19
	v_lshlrev_b32_e32 v7, 2, v7
	v_cndmask_b32_e32 v8, v15, v19, vcc_lo
	v_cmp_gt_i32_e32 vcc_lo, 32, v9
	ds_bpermute_b32 v7, v7, v22
	v_lshlrev_b32_e32 v8, 2, v8
	v_cndmask_b32_e32 v9, v15, v9, vcc_lo
	v_lshlrev_b32_e32 v9, 2, v9
	s_waitcnt lgkmcnt(0)
	v_add_f32_e32 v7, v22, v7
	ds_bpermute_b32 v8, v8, v7
	s_waitcnt lgkmcnt(0)
	v_add_f32_e32 v7, v7, v8
	ds_bpermute_b32 v8, v9, v7
	v_xor_b32_e32 v9, 2, v15
	v_cmp_gt_i32_e32 vcc_lo, 32, v9
	v_cndmask_b32_e32 v9, v15, v9, vcc_lo
	v_lshlrev_b32_e32 v9, 2, v9
	s_waitcnt lgkmcnt(0)
	v_add_f32_e32 v7, v7, v8
	ds_bpermute_b32 v8, v9, v7
	v_xor_b32_e32 v9, 1, v15
	v_cmp_gt_i32_e32 vcc_lo, 32, v9
	v_cndmask_b32_e32 v9, v15, v9, vcc_lo
	s_waitcnt lgkmcnt(0)
	v_add_f32_e32 v7, v7, v8
	v_lshlrev_b32_e32 v8, 2, v9
	ds_bpermute_b32 v8, v8, v7
	s_and_saveexec_b32 s10, s0
	s_cbranch_execz .LBB1_13
; %bb.31:                               ;   in Loop: Header=BB1_15 Depth=1
	v_div_scale_f32 v9, null, v21, v21, 1.0
	v_div_scale_f32 v23, vcc_lo, 1.0, v21, 1.0
	s_waitcnt lgkmcnt(0)
	v_add_f32_e32 v7, v7, v8
	v_rcp_f32_e32 v10, v9
	v_sub_f32_e32 v7, v20, v7
	v_fma_f32 v22, -v9, v10, 1.0
	v_fmac_f32_e32 v10, v22, v10
	v_mul_f32_e32 v22, v23, v10
	v_fma_f32 v24, -v9, v22, v23
	v_fmac_f32_e32 v22, v24, v10
	v_fma_f32 v9, -v9, v22, v23
	v_div_fmas_f32 v9, v9, v10, v22
	v_div_fixup_f32 v8, v9, v21, 1.0
	v_mul_f32_e32 v7, v8, v7
	v_fmac_f32_e32 v14, v7, v7
	global_store_dword v[5:6], v7, off
	s_branch .LBB1_13
.LBB1_32:
	s_or_b32 exec_lo, exec_lo, s6
.LBB1_33:
	s_or_b32 exec_lo, exec_lo, s3
	v_cmp_eq_u32_e32 vcc_lo, 31, v11
	v_cmp_lt_i32_e64 s0, -1, v3
	s_and_b32 s0, vcc_lo, s0
	s_and_saveexec_b32 s3, s0
	s_cbranch_execz .LBB1_44
; %bb.34:
	v_mov_b32_e32 v4, 0
	v_add_nc_u32_e32 v2, s2, v2
	v_lshlrev_b64 v[3:4], 2, v[3:4]
	v_add_co_u32 v3, s0, s20, v3
	v_add_co_ci_u32_e64 v4, null, s21, v4, s0
	s_load_dwordx2 s[0:1], s[4:5], 0x48
	global_load_dword v5, v[3:4], off
	s_waitcnt lgkmcnt(0)
	v_mul_f64 v[6:7], s[0:1], s[0:1]
	s_mov_b32 s1, exec_lo
	s_waitcnt vmcnt(0)
	v_sub_f32_e32 v5, v5, v14
	v_cvt_f64_f32_e32 v[8:9], v5
	v_cmpx_ge_f64_e32 v[6:7], v[8:9]
	s_cbranch_execz .LBB1_39
; %bb.35:
	s_mov_b32 s0, exec_lo
	s_brev_b32 s2, -2
.LBB1_36:                               ; =>This Inner Loop Header: Depth=1
	s_ff1_i32_b32 s4, s0
	v_readlane_b32 s5, v2, s4
	s_lshl_b32 s4, 1, s4
	s_andn2_b32 s0, s0, s4
	s_min_i32 s2, s2, s5
	s_cmp_lg_u32 s0, 0
	s_cbranch_scc1 .LBB1_36
; %bb.37:
	v_mbcnt_lo_u32_b32 v6, exec_lo, 0
	s_mov_b32 s4, exec_lo
	v_cmpx_eq_u32_e32 0, v6
	s_xor_b32 s4, exec_lo, s4
	s_cbranch_execz .LBB1_39
; %bb.38:
	v_mov_b32_e32 v6, 0
	v_mov_b32_e32 v7, s2
	global_atomic_smin v6, v7, s[14:15]
.LBB1_39:
	s_or_b32 exec_lo, exec_lo, s1
	v_cmp_gt_f32_e64 s0, 0, v5
	v_cndmask_b32_e64 v6, v5, -v5, s0
	v_mul_f32_e32 v7, 0x4f800000, v6
	v_cmp_gt_f32_e64 s0, 0xf800000, v6
	v_cndmask_b32_e64 v6, v6, v7, s0
	v_sqrt_f32_e32 v7, v6
	v_add_nc_u32_e32 v8, -1, v7
	v_add_nc_u32_e32 v9, 1, v7
	v_fma_f32 v10, -v8, v7, v6
	v_fma_f32 v11, -v9, v7, v6
	v_cmp_ge_f32_e64 s1, 0, v10
	v_cndmask_b32_e64 v7, v7, v8, s1
	v_cmp_lt_f32_e64 s1, 0, v11
	v_cndmask_b32_e64 v7, v7, v9, s1
	v_mul_f32_e32 v8, 0x37800000, v7
	v_cndmask_b32_e64 v7, v7, v8, s0
	v_cmp_class_f32_e64 s0, v6, 0x260
	v_cndmask_b32_e64 v6, v7, v6, s0
	v_cmp_eq_f32_e64 s0, 0, v5
	global_store_dword v[3:4], v6, off
	s_and_b32 exec_lo, exec_lo, s0
	s_cbranch_execz .LBB1_44
; %bb.40:
	s_mov_b32 s0, exec_lo
	s_brev_b32 s1, -2
.LBB1_41:                               ; =>This Inner Loop Header: Depth=1
	s_ff1_i32_b32 s2, s0
	v_readlane_b32 s4, v2, s2
	s_lshl_b32 s2, 1, s2
	s_andn2_b32 s0, s0, s2
	s_min_i32 s1, s1, s4
	s_cmp_lg_u32 s0, 0
	s_cbranch_scc1 .LBB1_41
; %bb.42:
	v_mbcnt_lo_u32_b32 v2, exec_lo, 0
	s_mov_b32 s2, exec_lo
	v_cmpx_eq_u32_e32 0, v2
	s_xor_b32 s2, exec_lo, s2
	s_cbranch_execz .LBB1_44
; %bb.43:
	v_mov_b32_e32 v2, 0
	v_mov_b32_e32 v3, s1
	global_atomic_smin v2, v3, s[12:13]
.LBB1_44:
	s_or_b32 exec_lo, exec_lo, s3
	s_and_b32 exec_lo, exec_lo, vcc_lo
	s_cbranch_execz .LBB1_46
; %bb.45:
	v_add_co_u32 v0, vcc_lo, s8, v0
	v_add_co_ci_u32_e64 v1, null, s9, v1, vcc_lo
	v_mov_b32_e32 v2, 1
	s_waitcnt lgkmcnt(0)
	s_waitcnt_vscnt null, 0x0
	global_store_dword v[0:1], v2, off
.LBB1_46:
	s_endpgm
	.section	.rodata,"a",@progbits
	.p2align	6, 0x0
	.amdhsa_kernel _ZN9rocsparseL18csric0_hash_kernelILj256ELj32ELj1EfEEviPKiS2_PT2_S2_PiS2_S5_S5_d21rocsparse_index_base_
		.amdhsa_group_segment_fixed_size 2048
		.amdhsa_private_segment_fixed_size 0
		.amdhsa_kernarg_size 84
		.amdhsa_user_sgpr_count 6
		.amdhsa_user_sgpr_private_segment_buffer 1
		.amdhsa_user_sgpr_dispatch_ptr 0
		.amdhsa_user_sgpr_queue_ptr 0
		.amdhsa_user_sgpr_kernarg_segment_ptr 1
		.amdhsa_user_sgpr_dispatch_id 0
		.amdhsa_user_sgpr_flat_scratch_init 0
		.amdhsa_user_sgpr_private_segment_size 0
		.amdhsa_wavefront_size32 1
		.amdhsa_uses_dynamic_stack 0
		.amdhsa_system_sgpr_private_segment_wavefront_offset 0
		.amdhsa_system_sgpr_workgroup_id_x 1
		.amdhsa_system_sgpr_workgroup_id_y 0
		.amdhsa_system_sgpr_workgroup_id_z 0
		.amdhsa_system_sgpr_workgroup_info 0
		.amdhsa_system_vgpr_workitem_id 0
		.amdhsa_next_free_vgpr 27
		.amdhsa_next_free_sgpr 31
		.amdhsa_reserve_vcc 1
		.amdhsa_reserve_flat_scratch 0
		.amdhsa_float_round_mode_32 0
		.amdhsa_float_round_mode_16_64 0
		.amdhsa_float_denorm_mode_32 3
		.amdhsa_float_denorm_mode_16_64 3
		.amdhsa_dx10_clamp 1
		.amdhsa_ieee_mode 1
		.amdhsa_fp16_overflow 0
		.amdhsa_workgroup_processor_mode 1
		.amdhsa_memory_ordered 1
		.amdhsa_forward_progress 1
		.amdhsa_shared_vgpr_count 0
		.amdhsa_exception_fp_ieee_invalid_op 0
		.amdhsa_exception_fp_denorm_src 0
		.amdhsa_exception_fp_ieee_div_zero 0
		.amdhsa_exception_fp_ieee_overflow 0
		.amdhsa_exception_fp_ieee_underflow 0
		.amdhsa_exception_fp_ieee_inexact 0
		.amdhsa_exception_int_div_zero 0
	.end_amdhsa_kernel
	.section	.text._ZN9rocsparseL18csric0_hash_kernelILj256ELj32ELj1EfEEviPKiS2_PT2_S2_PiS2_S5_S5_d21rocsparse_index_base_,"axG",@progbits,_ZN9rocsparseL18csric0_hash_kernelILj256ELj32ELj1EfEEviPKiS2_PT2_S2_PiS2_S5_S5_d21rocsparse_index_base_,comdat
.Lfunc_end1:
	.size	_ZN9rocsparseL18csric0_hash_kernelILj256ELj32ELj1EfEEviPKiS2_PT2_S2_PiS2_S5_S5_d21rocsparse_index_base_, .Lfunc_end1-_ZN9rocsparseL18csric0_hash_kernelILj256ELj32ELj1EfEEviPKiS2_PT2_S2_PiS2_S5_S5_d21rocsparse_index_base_
                                        ; -- End function
	.set _ZN9rocsparseL18csric0_hash_kernelILj256ELj32ELj1EfEEviPKiS2_PT2_S2_PiS2_S5_S5_d21rocsparse_index_base_.num_vgpr, 27
	.set _ZN9rocsparseL18csric0_hash_kernelILj256ELj32ELj1EfEEviPKiS2_PT2_S2_PiS2_S5_S5_d21rocsparse_index_base_.num_agpr, 0
	.set _ZN9rocsparseL18csric0_hash_kernelILj256ELj32ELj1EfEEviPKiS2_PT2_S2_PiS2_S5_S5_d21rocsparse_index_base_.numbered_sgpr, 31
	.set _ZN9rocsparseL18csric0_hash_kernelILj256ELj32ELj1EfEEviPKiS2_PT2_S2_PiS2_S5_S5_d21rocsparse_index_base_.num_named_barrier, 0
	.set _ZN9rocsparseL18csric0_hash_kernelILj256ELj32ELj1EfEEviPKiS2_PT2_S2_PiS2_S5_S5_d21rocsparse_index_base_.private_seg_size, 0
	.set _ZN9rocsparseL18csric0_hash_kernelILj256ELj32ELj1EfEEviPKiS2_PT2_S2_PiS2_S5_S5_d21rocsparse_index_base_.uses_vcc, 1
	.set _ZN9rocsparseL18csric0_hash_kernelILj256ELj32ELj1EfEEviPKiS2_PT2_S2_PiS2_S5_S5_d21rocsparse_index_base_.uses_flat_scratch, 0
	.set _ZN9rocsparseL18csric0_hash_kernelILj256ELj32ELj1EfEEviPKiS2_PT2_S2_PiS2_S5_S5_d21rocsparse_index_base_.has_dyn_sized_stack, 0
	.set _ZN9rocsparseL18csric0_hash_kernelILj256ELj32ELj1EfEEviPKiS2_PT2_S2_PiS2_S5_S5_d21rocsparse_index_base_.has_recursion, 0
	.set _ZN9rocsparseL18csric0_hash_kernelILj256ELj32ELj1EfEEviPKiS2_PT2_S2_PiS2_S5_S5_d21rocsparse_index_base_.has_indirect_call, 0
	.section	.AMDGPU.csdata,"",@progbits
; Kernel info:
; codeLenInByte = 2072
; TotalNumSgprs: 33
; NumVgprs: 27
; ScratchSize: 0
; MemoryBound: 0
; FloatMode: 240
; IeeeMode: 1
; LDSByteSize: 2048 bytes/workgroup (compile time only)
; SGPRBlocks: 0
; VGPRBlocks: 3
; NumSGPRsForWavesPerEU: 33
; NumVGPRsForWavesPerEU: 27
; Occupancy: 16
; WaveLimiterHint : 1
; COMPUTE_PGM_RSRC2:SCRATCH_EN: 0
; COMPUTE_PGM_RSRC2:USER_SGPR: 6
; COMPUTE_PGM_RSRC2:TRAP_HANDLER: 0
; COMPUTE_PGM_RSRC2:TGID_X_EN: 1
; COMPUTE_PGM_RSRC2:TGID_Y_EN: 0
; COMPUTE_PGM_RSRC2:TGID_Z_EN: 0
; COMPUTE_PGM_RSRC2:TIDIG_COMP_CNT: 0
	.section	.text._ZN9rocsparseL18csric0_hash_kernelILj256ELj32ELj2EfEEviPKiS2_PT2_S2_PiS2_S5_S5_d21rocsparse_index_base_,"axG",@progbits,_ZN9rocsparseL18csric0_hash_kernelILj256ELj32ELj2EfEEviPKiS2_PT2_S2_PiS2_S5_S5_d21rocsparse_index_base_,comdat
	.globl	_ZN9rocsparseL18csric0_hash_kernelILj256ELj32ELj2EfEEviPKiS2_PT2_S2_PiS2_S5_S5_d21rocsparse_index_base_ ; -- Begin function _ZN9rocsparseL18csric0_hash_kernelILj256ELj32ELj2EfEEviPKiS2_PT2_S2_PiS2_S5_S5_d21rocsparse_index_base_
	.p2align	8
	.type	_ZN9rocsparseL18csric0_hash_kernelILj256ELj32ELj2EfEEviPKiS2_PT2_S2_PiS2_S5_S5_d21rocsparse_index_base_,@function
_ZN9rocsparseL18csric0_hash_kernelILj256ELj32ELj2EfEEviPKiS2_PT2_S2_PiS2_S5_S5_d21rocsparse_index_base_: ; @_ZN9rocsparseL18csric0_hash_kernelILj256ELj32ELj2EfEEviPKiS2_PT2_S2_PiS2_S5_S5_d21rocsparse_index_base_
; %bb.0:
	s_clause 0x1
	s_load_dwordx8 s[16:23], s[4:5], 0x8
	s_load_dwordx8 s[8:15], s[4:5], 0x28
	v_lshrrev_b32_e32 v1, 5, v0
	v_and_b32_e32 v12, 31, v0
	s_mov_b32 s0, 0
	v_lshlrev_b32_e32 v3, 8, v1
	v_lshlrev_b32_e32 v4, 2, v12
	v_or_b32_e32 v2, 0xffffffe0, v12
	v_or3_b32 v3, v3, v4, 0x800
	v_mov_b32_e32 v4, -1
.LBB2_1:                                ; =>This Inner Loop Header: Depth=1
	v_add_co_u32 v2, s1, v2, 32
	s_xor_b32 s1, s1, -1
	ds_write_b32 v3, v4
	v_add_nc_u32_e32 v3, 0x80, v3
	s_and_b32 s1, exec_lo, s1
	s_or_b32 s0, s1, s0
	s_andn2_b32 exec_lo, exec_lo, s0
	s_cbranch_execnz .LBB2_1
; %bb.2:
	s_or_b32 exec_lo, exec_lo, s0
	s_load_dword s0, s[4:5], 0x0
	s_lshl_b32 s1, s6, 3
	s_waitcnt lgkmcnt(0)
	buffer_gl0_inv
	v_and_or_b32 v1, 0x7fffff8, s1, v1
	v_cmp_gt_i32_e32 vcc_lo, s0, v1
	s_and_saveexec_b32 s0, vcc_lo
	s_cbranch_execz .LBB2_48
; %bb.3:
	v_lshlrev_b32_e32 v1, 2, v1
	s_load_dword s2, s[4:5], 0x50
	v_lshlrev_b32_e32 v0, 3, v0
	s_mov_b32 s0, exec_lo
	global_load_dword v3, v1, s[10:11]
	v_and_b32_e32 v0, 0x700, v0
	v_or_b32_e32 v13, 0x800, v0
	s_waitcnt vmcnt(0)
	v_ashrrev_i32_e32 v4, 31, v3
	v_lshlrev_b64 v[1:2], 2, v[3:4]
	v_add_co_u32 v4, vcc_lo, s16, v1
	v_add_co_ci_u32_e64 v5, null, s17, v2, vcc_lo
	v_add_co_u32 v7, vcc_lo, s22, v1
	v_add_co_ci_u32_e64 v8, null, s23, v2, vcc_lo
	global_load_dwordx2 v[5:6], v[4:5], off
	global_load_dword v4, v[7:8], off
	s_waitcnt vmcnt(1) lgkmcnt(0)
	v_subrev_nc_u32_e32 v5, s2, v5
	v_subrev_nc_u32_e32 v8, s2, v6
	v_add_nc_u32_e32 v6, v5, v12
	v_cmpx_lt_i32_e64 v6, v8
	s_cbranch_execz .LBB2_13
; %bb.4:
	v_mov_b32_e32 v9, -1
	s_mov_b32 s1, 0
	s_branch .LBB2_6
.LBB2_5:                                ;   in Loop: Header=BB2_6 Depth=1
	s_or_b32 exec_lo, exec_lo, s3
	v_add_nc_u32_e32 v6, 32, v6
	v_cmp_ge_i32_e32 vcc_lo, v6, v8
	s_or_b32 s1, vcc_lo, s1
	s_andn2_b32 exec_lo, exec_lo, s1
	s_cbranch_execz .LBB2_13
.LBB2_6:                                ; =>This Loop Header: Depth=1
                                        ;     Child Loop BB2_9 Depth 2
	v_ashrrev_i32_e32 v7, 31, v6
	s_mov_b32 s3, exec_lo
	v_lshlrev_b64 v[10:11], 2, v[6:7]
	v_add_co_u32 v10, vcc_lo, s18, v10
	v_add_co_ci_u32_e64 v11, null, s19, v11, vcc_lo
	global_load_dword v7, v[10:11], off
	s_waitcnt vmcnt(0)
	v_mul_lo_u32 v10, v7, 39
	v_and_b32_e32 v10, 63, v10
	v_lshl_add_u32 v11, v10, 2, v13
	ds_read_b32 v14, v11
	s_waitcnt lgkmcnt(0)
	v_cmpx_ne_u32_e64 v14, v7
	s_cbranch_execz .LBB2_5
; %bb.7:                                ;   in Loop: Header=BB2_6 Depth=1
	s_mov_b32 s6, 0
                                        ; implicit-def: $sgpr7
                                        ; implicit-def: $sgpr11
                                        ; implicit-def: $sgpr10
	s_inst_prefetch 0x1
	s_branch .LBB2_9
	.p2align	6
.LBB2_8:                                ;   in Loop: Header=BB2_9 Depth=2
	s_or_b32 exec_lo, exec_lo, s24
	s_and_b32 s24, exec_lo, s11
	s_or_b32 s6, s24, s6
	s_andn2_b32 s7, s7, exec_lo
	s_and_b32 s24, s10, exec_lo
	s_or_b32 s7, s7, s24
	s_andn2_b32 exec_lo, exec_lo, s6
	s_cbranch_execz .LBB2_11
.LBB2_9:                                ;   Parent Loop BB2_6 Depth=1
                                        ; =>  This Inner Loop Header: Depth=2
	ds_cmpst_rtn_b32 v11, v11, v9, v7
	v_mov_b32_e32 v14, v10
	s_or_b32 s10, s10, exec_lo
	s_or_b32 s11, s11, exec_lo
                                        ; implicit-def: $vgpr10
	s_waitcnt lgkmcnt(0)
	v_cmp_ne_u32_e32 vcc_lo, -1, v11
                                        ; implicit-def: $vgpr11
	s_and_saveexec_b32 s24, vcc_lo
	s_cbranch_execz .LBB2_8
; %bb.10:                               ;   in Loop: Header=BB2_9 Depth=2
	v_add_nc_u32_e32 v10, 1, v14
	s_andn2_b32 s11, s11, exec_lo
	s_andn2_b32 s10, s10, exec_lo
	v_and_b32_e32 v10, 63, v10
	v_lshl_add_u32 v11, v10, 2, v13
	ds_read_b32 v15, v11
	s_waitcnt lgkmcnt(0)
	v_cmp_eq_u32_e32 vcc_lo, v15, v7
	s_and_b32 s25, vcc_lo, exec_lo
	s_or_b32 s11, s11, s25
	s_branch .LBB2_8
.LBB2_11:                               ;   in Loop: Header=BB2_6 Depth=1
	s_inst_prefetch 0x2
	s_or_b32 exec_lo, exec_lo, s6
	s_and_saveexec_b32 s6, s7
	s_xor_b32 s6, exec_lo, s6
	s_cbranch_execz .LBB2_5
; %bb.12:                               ;   in Loop: Header=BB2_6 Depth=1
	v_lshl_add_u32 v7, v14, 2, v0
	ds_write_b32 v7, v6
	s_branch .LBB2_5
.LBB2_13:
	s_or_b32 exec_lo, exec_lo, s0
	v_mov_b32_e32 v14, 0
	s_mov_b32 s3, exec_lo
	s_waitcnt vmcnt(0) lgkmcnt(0)
	buffer_gl0_inv
	v_cmpx_lt_i32_e64 v5, v4
	s_cbranch_execz .LBB2_35
; %bb.14:
	v_mbcnt_lo_u32_b32 v15, -1, 0
	v_add_nc_u32_e32 v16, -1, v4
	v_subrev_nc_u32_e32 v17, s2, v12
	v_cmp_eq_u32_e64 s0, 31, v12
	v_mov_b32_e32 v14, 0
	v_xor_b32_e32 v18, 16, v15
	v_xor_b32_e32 v19, 8, v15
	;; [unrolled: 1-line block ×5, first 2 shown]
	s_mov_b32 s6, 0
	s_branch .LBB2_17
.LBB2_15:                               ;   in Loop: Header=BB2_17 Depth=1
	s_or_b32 exec_lo, exec_lo, s10
.LBB2_16:                               ;   in Loop: Header=BB2_17 Depth=1
	s_or_b32 exec_lo, exec_lo, s7
	v_add_nc_u32_e32 v5, 1, v5
	s_xor_b32 s1, s1, -1
	v_cmp_ge_i32_e32 vcc_lo, v5, v4
	s_or_b32 s1, s1, vcc_lo
	s_and_b32 s1, exec_lo, s1
	s_or_b32 s6, s1, s6
	s_andn2_b32 exec_lo, exec_lo, s6
	s_cbranch_execz .LBB2_34
.LBB2_17:                               ; =>This Loop Header: Depth=1
                                        ;     Child Loop BB2_18 Depth 2
                                        ;     Child Loop BB2_24 Depth 2
                                        ;       Child Loop BB2_27 Depth 3
	v_ashrrev_i32_e32 v6, 31, v5
	s_mov_b32 s1, 0
	v_lshlrev_b64 v[6:7], 2, v[5:6]
	v_add_co_u32 v8, vcc_lo, s18, v6
	s_waitcnt lgkmcnt(0)
	v_add_co_ci_u32_e64 v9, null, s19, v7, vcc_lo
	v_add_co_u32 v6, vcc_lo, s20, v6
	v_add_co_ci_u32_e64 v7, null, s21, v7, vcc_lo
	global_load_dword v8, v[8:9], off
	s_waitcnt vmcnt(0)
	v_subrev_nc_u32_e32 v8, s2, v8
	v_ashrrev_i32_e32 v9, 31, v8
	v_lshlrev_b64 v[8:9], 2, v[8:9]
	v_add_co_u32 v10, vcc_lo, s16, v8
	v_add_co_ci_u32_e64 v11, null, s17, v9, vcc_lo
	v_add_co_u32 v24, vcc_lo, s22, v8
	v_add_co_ci_u32_e64 v25, null, s23, v9, vcc_lo
	global_load_dword v23, v[6:7], off
	global_load_dword v10, v[10:11], off
	;; [unrolled: 1-line block ×3, first 2 shown]
	v_add_co_u32 v8, vcc_lo, s8, v8
	v_add_co_ci_u32_e64 v9, null, s9, v9, vcc_lo
.LBB2_18:                               ;   Parent Loop BB2_17 Depth=1
                                        ; =>  This Inner Loop Header: Depth=2
	global_load_dword v24, v[8:9], off glc dlc
	s_waitcnt vmcnt(0)
	v_cmp_ne_u32_e32 vcc_lo, 0, v24
	s_or_b32 s1, vcc_lo, s1
	s_andn2_b32 exec_lo, exec_lo, s1
	s_cbranch_execnz .LBB2_18
; %bb.19:                               ;   in Loop: Header=BB2_17 Depth=1
	s_or_b32 exec_lo, exec_lo, s1
	v_cmp_eq_u32_e32 vcc_lo, -1, v11
	buffer_gl1_inv
	buffer_gl0_inv
	v_cndmask_b32_e32 v8, v11, v16, vcc_lo
	v_ashrrev_i32_e32 v9, 31, v8
	v_lshlrev_b64 v[24:25], 2, v[8:9]
	v_add_co_u32 v24, vcc_lo, s20, v24
	v_add_co_ci_u32_e64 v25, null, s21, v25, vcc_lo
	global_load_dword v24, v[24:25], off
	s_waitcnt vmcnt(0)
	v_cmp_neq_f32_e64 s1, 0, v24
	s_and_saveexec_b32 s7, s1
	s_cbranch_execz .LBB2_16
; %bb.20:                               ;   in Loop: Header=BB2_17 Depth=1
	v_add_nc_u32_e32 v9, v17, v10
	v_mov_b32_e32 v25, 0
	s_mov_b32 s10, exec_lo
	v_cmpx_lt_i32_e64 v9, v8
	s_cbranch_execz .LBB2_32
; %bb.21:                               ;   in Loop: Header=BB2_17 Depth=1
	v_mov_b32_e32 v25, 0
	s_mov_b32 s11, 0
	s_branch .LBB2_24
.LBB2_22:                               ;   in Loop: Header=BB2_24 Depth=2
	s_or_b32 exec_lo, exec_lo, s25
.LBB2_23:                               ;   in Loop: Header=BB2_24 Depth=2
	s_or_b32 exec_lo, exec_lo, s24
	v_add_nc_u32_e32 v9, 32, v9
	v_cmp_ge_i32_e32 vcc_lo, v9, v8
	s_or_b32 s11, vcc_lo, s11
	s_andn2_b32 exec_lo, exec_lo, s11
	s_cbranch_execz .LBB2_31
.LBB2_24:                               ;   Parent Loop BB2_17 Depth=1
                                        ; =>  This Loop Header: Depth=2
                                        ;       Child Loop BB2_27 Depth 3
	v_ashrrev_i32_e32 v10, 31, v9
	s_mov_b32 s24, exec_lo
	v_lshlrev_b64 v[10:11], 2, v[9:10]
	v_add_co_u32 v26, vcc_lo, s18, v10
	v_add_co_ci_u32_e64 v27, null, s19, v11, vcc_lo
	global_load_dword v26, v[26:27], off
	s_waitcnt vmcnt(0)
	v_mul_lo_u32 v27, v26, 39
	v_and_b32_e32 v29, 63, v27
	v_lshl_add_u32 v27, v29, 2, v13
	ds_read_b32 v28, v27
	s_waitcnt lgkmcnt(0)
	v_cmpx_ne_u32_e32 -1, v28
	s_cbranch_execz .LBB2_23
; %bb.25:                               ;   in Loop: Header=BB2_24 Depth=2
	s_mov_b32 s25, 0
                                        ; implicit-def: $sgpr26
                                        ; implicit-def: $sgpr28
                                        ; implicit-def: $sgpr27
	s_inst_prefetch 0x1
	s_branch .LBB2_27
	.p2align	6
.LBB2_26:                               ;   in Loop: Header=BB2_27 Depth=3
	s_or_b32 exec_lo, exec_lo, s29
	s_and_b32 s29, exec_lo, s28
	s_or_b32 s25, s29, s25
	s_andn2_b32 s26, s26, exec_lo
	s_and_b32 s29, s27, exec_lo
	s_or_b32 s26, s26, s29
	s_andn2_b32 exec_lo, exec_lo, s25
	s_cbranch_execz .LBB2_29
.LBB2_27:                               ;   Parent Loop BB2_17 Depth=1
                                        ;     Parent Loop BB2_24 Depth=2
                                        ; =>    This Inner Loop Header: Depth=3
	v_mov_b32_e32 v27, v29
	v_cmp_ne_u32_e32 vcc_lo, v28, v26
	s_or_b32 s27, s27, exec_lo
	s_or_b32 s28, s28, exec_lo
                                        ; implicit-def: $vgpr29
                                        ; implicit-def: $vgpr28
	s_and_saveexec_b32 s29, vcc_lo
	s_cbranch_execz .LBB2_26
; %bb.28:                               ;   in Loop: Header=BB2_27 Depth=3
	v_add_nc_u32_e32 v28, 1, v27
	s_andn2_b32 s28, s28, exec_lo
	s_andn2_b32 s27, s27, exec_lo
	v_and_b32_e32 v29, 63, v28
	v_lshl_add_u32 v28, v29, 2, v13
	ds_read_b32 v28, v28
	s_waitcnt lgkmcnt(0)
	v_cmp_eq_u32_e32 vcc_lo, -1, v28
	s_and_b32 s30, vcc_lo, exec_lo
	s_or_b32 s28, s28, s30
	s_branch .LBB2_26
.LBB2_29:                               ;   in Loop: Header=BB2_24 Depth=2
	s_inst_prefetch 0x2
	s_or_b32 exec_lo, exec_lo, s25
	s_and_saveexec_b32 s25, s26
	s_xor_b32 s25, exec_lo, s25
	s_cbranch_execz .LBB2_22
; %bb.30:                               ;   in Loop: Header=BB2_24 Depth=2
	v_lshl_add_u32 v26, v27, 2, v0
	v_add_co_u32 v10, vcc_lo, s20, v10
	v_add_co_ci_u32_e64 v11, null, s21, v11, vcc_lo
	ds_read_b32 v26, v26
	s_waitcnt lgkmcnt(0)
	v_ashrrev_i32_e32 v27, 31, v26
	v_lshlrev_b64 v[26:27], 2, v[26:27]
	v_add_co_u32 v26, vcc_lo, s20, v26
	v_add_co_ci_u32_e64 v27, null, s21, v27, vcc_lo
	s_clause 0x1
	global_load_dword v10, v[10:11], off
	global_load_dword v11, v[26:27], off
	s_waitcnt vmcnt(0)
	v_fmac_f32_e32 v25, v10, v11
	s_branch .LBB2_22
.LBB2_31:                               ;   in Loop: Header=BB2_17 Depth=1
	s_or_b32 exec_lo, exec_lo, s11
.LBB2_32:                               ;   in Loop: Header=BB2_17 Depth=1
	s_or_b32 exec_lo, exec_lo, s10
	v_cmp_gt_i32_e32 vcc_lo, 32, v18
	v_cndmask_b32_e32 v8, v15, v18, vcc_lo
	v_cmp_gt_i32_e32 vcc_lo, 32, v19
	v_lshlrev_b32_e32 v8, 2, v8
	v_cndmask_b32_e32 v9, v15, v19, vcc_lo
	v_cmp_gt_i32_e32 vcc_lo, 32, v20
	ds_bpermute_b32 v8, v8, v25
	v_lshlrev_b32_e32 v9, 2, v9
	v_cndmask_b32_e32 v10, v15, v20, vcc_lo
	v_cmp_gt_i32_e32 vcc_lo, 32, v21
	v_lshlrev_b32_e32 v10, 2, v10
	s_waitcnt lgkmcnt(0)
	v_add_f32_e32 v8, v25, v8
	ds_bpermute_b32 v9, v9, v8
	s_waitcnt lgkmcnt(0)
	v_add_f32_e32 v8, v8, v9
	ds_bpermute_b32 v9, v10, v8
	v_cndmask_b32_e32 v10, v15, v21, vcc_lo
	v_cmp_gt_i32_e32 vcc_lo, 32, v22
	v_lshlrev_b32_e32 v10, 2, v10
	s_waitcnt lgkmcnt(0)
	v_add_f32_e32 v8, v8, v9
	ds_bpermute_b32 v9, v10, v8
	v_cndmask_b32_e32 v10, v15, v22, vcc_lo
	s_waitcnt lgkmcnt(0)
	v_add_f32_e32 v8, v8, v9
	v_lshlrev_b32_e32 v9, 2, v10
	ds_bpermute_b32 v9, v9, v8
	s_and_saveexec_b32 s10, s0
	s_cbranch_execz .LBB2_15
; %bb.33:                               ;   in Loop: Header=BB2_17 Depth=1
	v_div_scale_f32 v10, null, v24, v24, 1.0
	v_div_scale_f32 v26, vcc_lo, 1.0, v24, 1.0
	s_waitcnt lgkmcnt(0)
	v_add_f32_e32 v8, v8, v9
	v_rcp_f32_e32 v11, v10
	v_sub_f32_e32 v8, v23, v8
	v_fma_f32 v25, -v10, v11, 1.0
	v_fmac_f32_e32 v11, v25, v11
	v_mul_f32_e32 v25, v26, v11
	v_fma_f32 v27, -v10, v25, v26
	v_fmac_f32_e32 v25, v27, v11
	v_fma_f32 v10, -v10, v25, v26
	v_div_fmas_f32 v10, v10, v11, v25
	v_div_fixup_f32 v9, v10, v24, 1.0
	v_mul_f32_e32 v8, v9, v8
	v_fmac_f32_e32 v14, v8, v8
	global_store_dword v[6:7], v8, off
	s_branch .LBB2_15
.LBB2_34:
	s_or_b32 exec_lo, exec_lo, s6
.LBB2_35:
	s_or_b32 exec_lo, exec_lo, s3
	v_cmp_eq_u32_e32 vcc_lo, 31, v12
	v_cmp_lt_i32_e64 s0, -1, v4
	s_and_b32 s0, vcc_lo, s0
	s_and_saveexec_b32 s3, s0
	s_cbranch_execz .LBB2_46
; %bb.36:
	v_mov_b32_e32 v5, 0
	v_lshlrev_b64 v[4:5], 2, v[4:5]
	v_add_co_u32 v4, s0, s20, v4
	v_add_co_ci_u32_e64 v5, null, s21, v5, s0
	s_load_dwordx2 s[0:1], s[4:5], 0x48
	global_load_dword v0, v[4:5], off
	s_waitcnt lgkmcnt(0)
	v_mul_f64 v[7:8], s[0:1], s[0:1]
	s_mov_b32 s1, exec_lo
	s_waitcnt vmcnt(0)
	v_sub_f32_e32 v6, v0, v14
	v_add_nc_u32_e32 v0, s2, v3
	v_cvt_f64_f32_e32 v[9:10], v6
	v_cmpx_ge_f64_e32 v[7:8], v[9:10]
	s_cbranch_execz .LBB2_41
; %bb.37:
	s_mov_b32 s0, exec_lo
	s_brev_b32 s2, -2
.LBB2_38:                               ; =>This Inner Loop Header: Depth=1
	s_ff1_i32_b32 s4, s0
	v_readlane_b32 s5, v0, s4
	s_lshl_b32 s4, 1, s4
	s_andn2_b32 s0, s0, s4
	s_min_i32 s2, s2, s5
	s_cmp_lg_u32 s0, 0
	s_cbranch_scc1 .LBB2_38
; %bb.39:
	v_mbcnt_lo_u32_b32 v3, exec_lo, 0
	s_mov_b32 s4, exec_lo
	v_cmpx_eq_u32_e32 0, v3
	s_xor_b32 s4, exec_lo, s4
	s_cbranch_execz .LBB2_41
; %bb.40:
	v_mov_b32_e32 v3, 0
	v_mov_b32_e32 v7, s2
	global_atomic_smin v3, v7, s[14:15]
.LBB2_41:
	s_or_b32 exec_lo, exec_lo, s1
	v_cmp_gt_f32_e64 s0, 0, v6
	v_cndmask_b32_e64 v3, v6, -v6, s0
	v_mul_f32_e32 v7, 0x4f800000, v3
	v_cmp_gt_f32_e64 s0, 0xf800000, v3
	v_cndmask_b32_e64 v3, v3, v7, s0
	v_sqrt_f32_e32 v7, v3
	v_add_nc_u32_e32 v8, -1, v7
	v_add_nc_u32_e32 v9, 1, v7
	v_fma_f32 v10, -v8, v7, v3
	v_fma_f32 v11, -v9, v7, v3
	v_cmp_ge_f32_e64 s1, 0, v10
	v_cndmask_b32_e64 v7, v7, v8, s1
	v_cmp_lt_f32_e64 s1, 0, v11
	v_cndmask_b32_e64 v7, v7, v9, s1
	v_mul_f32_e32 v8, 0x37800000, v7
	v_cndmask_b32_e64 v7, v7, v8, s0
	v_cmp_class_f32_e64 s0, v3, 0x260
	v_cndmask_b32_e64 v3, v7, v3, s0
	v_cmp_eq_f32_e64 s0, 0, v6
	global_store_dword v[4:5], v3, off
	s_and_b32 exec_lo, exec_lo, s0
	s_cbranch_execz .LBB2_46
; %bb.42:
	s_mov_b32 s0, exec_lo
	s_brev_b32 s1, -2
.LBB2_43:                               ; =>This Inner Loop Header: Depth=1
	s_ff1_i32_b32 s2, s0
	v_readlane_b32 s4, v0, s2
	s_lshl_b32 s2, 1, s2
	s_andn2_b32 s0, s0, s2
	s_min_i32 s1, s1, s4
	s_cmp_lg_u32 s0, 0
	s_cbranch_scc1 .LBB2_43
; %bb.44:
	v_mbcnt_lo_u32_b32 v0, exec_lo, 0
	s_mov_b32 s2, exec_lo
	v_cmpx_eq_u32_e32 0, v0
	s_xor_b32 s2, exec_lo, s2
	s_cbranch_execz .LBB2_46
; %bb.45:
	v_mov_b32_e32 v0, 0
	v_mov_b32_e32 v3, s1
	global_atomic_smin v0, v3, s[12:13]
.LBB2_46:
	s_or_b32 exec_lo, exec_lo, s3
	s_and_b32 exec_lo, exec_lo, vcc_lo
	s_cbranch_execz .LBB2_48
; %bb.47:
	v_add_co_u32 v0, vcc_lo, s8, v1
	v_add_co_ci_u32_e64 v1, null, s9, v2, vcc_lo
	v_mov_b32_e32 v2, 1
	s_waitcnt lgkmcnt(0)
	s_waitcnt_vscnt null, 0x0
	global_store_dword v[0:1], v2, off
.LBB2_48:
	s_endpgm
	.section	.rodata,"a",@progbits
	.p2align	6, 0x0
	.amdhsa_kernel _ZN9rocsparseL18csric0_hash_kernelILj256ELj32ELj2EfEEviPKiS2_PT2_S2_PiS2_S5_S5_d21rocsparse_index_base_
		.amdhsa_group_segment_fixed_size 4096
		.amdhsa_private_segment_fixed_size 0
		.amdhsa_kernarg_size 84
		.amdhsa_user_sgpr_count 6
		.amdhsa_user_sgpr_private_segment_buffer 1
		.amdhsa_user_sgpr_dispatch_ptr 0
		.amdhsa_user_sgpr_queue_ptr 0
		.amdhsa_user_sgpr_kernarg_segment_ptr 1
		.amdhsa_user_sgpr_dispatch_id 0
		.amdhsa_user_sgpr_flat_scratch_init 0
		.amdhsa_user_sgpr_private_segment_size 0
		.amdhsa_wavefront_size32 1
		.amdhsa_uses_dynamic_stack 0
		.amdhsa_system_sgpr_private_segment_wavefront_offset 0
		.amdhsa_system_sgpr_workgroup_id_x 1
		.amdhsa_system_sgpr_workgroup_id_y 0
		.amdhsa_system_sgpr_workgroup_id_z 0
		.amdhsa_system_sgpr_workgroup_info 0
		.amdhsa_system_vgpr_workitem_id 0
		.amdhsa_next_free_vgpr 30
		.amdhsa_next_free_sgpr 31
		.amdhsa_reserve_vcc 1
		.amdhsa_reserve_flat_scratch 0
		.amdhsa_float_round_mode_32 0
		.amdhsa_float_round_mode_16_64 0
		.amdhsa_float_denorm_mode_32 3
		.amdhsa_float_denorm_mode_16_64 3
		.amdhsa_dx10_clamp 1
		.amdhsa_ieee_mode 1
		.amdhsa_fp16_overflow 0
		.amdhsa_workgroup_processor_mode 1
		.amdhsa_memory_ordered 1
		.amdhsa_forward_progress 1
		.amdhsa_shared_vgpr_count 0
		.amdhsa_exception_fp_ieee_invalid_op 0
		.amdhsa_exception_fp_denorm_src 0
		.amdhsa_exception_fp_ieee_div_zero 0
		.amdhsa_exception_fp_ieee_overflow 0
		.amdhsa_exception_fp_ieee_underflow 0
		.amdhsa_exception_fp_ieee_inexact 0
		.amdhsa_exception_int_div_zero 0
	.end_amdhsa_kernel
	.section	.text._ZN9rocsparseL18csric0_hash_kernelILj256ELj32ELj2EfEEviPKiS2_PT2_S2_PiS2_S5_S5_d21rocsparse_index_base_,"axG",@progbits,_ZN9rocsparseL18csric0_hash_kernelILj256ELj32ELj2EfEEviPKiS2_PT2_S2_PiS2_S5_S5_d21rocsparse_index_base_,comdat
.Lfunc_end2:
	.size	_ZN9rocsparseL18csric0_hash_kernelILj256ELj32ELj2EfEEviPKiS2_PT2_S2_PiS2_S5_S5_d21rocsparse_index_base_, .Lfunc_end2-_ZN9rocsparseL18csric0_hash_kernelILj256ELj32ELj2EfEEviPKiS2_PT2_S2_PiS2_S5_S5_d21rocsparse_index_base_
                                        ; -- End function
	.set _ZN9rocsparseL18csric0_hash_kernelILj256ELj32ELj2EfEEviPKiS2_PT2_S2_PiS2_S5_S5_d21rocsparse_index_base_.num_vgpr, 30
	.set _ZN9rocsparseL18csric0_hash_kernelILj256ELj32ELj2EfEEviPKiS2_PT2_S2_PiS2_S5_S5_d21rocsparse_index_base_.num_agpr, 0
	.set _ZN9rocsparseL18csric0_hash_kernelILj256ELj32ELj2EfEEviPKiS2_PT2_S2_PiS2_S5_S5_d21rocsparse_index_base_.numbered_sgpr, 31
	.set _ZN9rocsparseL18csric0_hash_kernelILj256ELj32ELj2EfEEviPKiS2_PT2_S2_PiS2_S5_S5_d21rocsparse_index_base_.num_named_barrier, 0
	.set _ZN9rocsparseL18csric0_hash_kernelILj256ELj32ELj2EfEEviPKiS2_PT2_S2_PiS2_S5_S5_d21rocsparse_index_base_.private_seg_size, 0
	.set _ZN9rocsparseL18csric0_hash_kernelILj256ELj32ELj2EfEEviPKiS2_PT2_S2_PiS2_S5_S5_d21rocsparse_index_base_.uses_vcc, 1
	.set _ZN9rocsparseL18csric0_hash_kernelILj256ELj32ELj2EfEEviPKiS2_PT2_S2_PiS2_S5_S5_d21rocsparse_index_base_.uses_flat_scratch, 0
	.set _ZN9rocsparseL18csric0_hash_kernelILj256ELj32ELj2EfEEviPKiS2_PT2_S2_PiS2_S5_S5_d21rocsparse_index_base_.has_dyn_sized_stack, 0
	.set _ZN9rocsparseL18csric0_hash_kernelILj256ELj32ELj2EfEEviPKiS2_PT2_S2_PiS2_S5_S5_d21rocsparse_index_base_.has_recursion, 0
	.set _ZN9rocsparseL18csric0_hash_kernelILj256ELj32ELj2EfEEviPKiS2_PT2_S2_PiS2_S5_S5_d21rocsparse_index_base_.has_indirect_call, 0
	.section	.AMDGPU.csdata,"",@progbits
; Kernel info:
; codeLenInByte = 2188
; TotalNumSgprs: 33
; NumVgprs: 30
; ScratchSize: 0
; MemoryBound: 0
; FloatMode: 240
; IeeeMode: 1
; LDSByteSize: 4096 bytes/workgroup (compile time only)
; SGPRBlocks: 0
; VGPRBlocks: 3
; NumSGPRsForWavesPerEU: 33
; NumVGPRsForWavesPerEU: 30
; Occupancy: 16
; WaveLimiterHint : 1
; COMPUTE_PGM_RSRC2:SCRATCH_EN: 0
; COMPUTE_PGM_RSRC2:USER_SGPR: 6
; COMPUTE_PGM_RSRC2:TRAP_HANDLER: 0
; COMPUTE_PGM_RSRC2:TGID_X_EN: 1
; COMPUTE_PGM_RSRC2:TGID_Y_EN: 0
; COMPUTE_PGM_RSRC2:TGID_Z_EN: 0
; COMPUTE_PGM_RSRC2:TIDIG_COMP_CNT: 0
	.section	.text._ZN9rocsparseL18csric0_hash_kernelILj256ELj32ELj4EfEEviPKiS2_PT2_S2_PiS2_S5_S5_d21rocsparse_index_base_,"axG",@progbits,_ZN9rocsparseL18csric0_hash_kernelILj256ELj32ELj4EfEEviPKiS2_PT2_S2_PiS2_S5_S5_d21rocsparse_index_base_,comdat
	.globl	_ZN9rocsparseL18csric0_hash_kernelILj256ELj32ELj4EfEEviPKiS2_PT2_S2_PiS2_S5_S5_d21rocsparse_index_base_ ; -- Begin function _ZN9rocsparseL18csric0_hash_kernelILj256ELj32ELj4EfEEviPKiS2_PT2_S2_PiS2_S5_S5_d21rocsparse_index_base_
	.p2align	8
	.type	_ZN9rocsparseL18csric0_hash_kernelILj256ELj32ELj4EfEEviPKiS2_PT2_S2_PiS2_S5_S5_d21rocsparse_index_base_,@function
_ZN9rocsparseL18csric0_hash_kernelILj256ELj32ELj4EfEEviPKiS2_PT2_S2_PiS2_S5_S5_d21rocsparse_index_base_: ; @_ZN9rocsparseL18csric0_hash_kernelILj256ELj32ELj4EfEEviPKiS2_PT2_S2_PiS2_S5_S5_d21rocsparse_index_base_
; %bb.0:
	s_clause 0x1
	s_load_dwordx8 s[16:23], s[4:5], 0x8
	s_load_dwordx8 s[8:15], s[4:5], 0x28
	v_lshrrev_b32_e32 v1, 5, v0
	v_and_b32_e32 v12, 31, v0
	s_mov_b32 s0, 0
	v_lshlrev_b32_e32 v3, 9, v1
	v_lshlrev_b32_e32 v4, 2, v12
	v_or_b32_e32 v2, 0xffffffe0, v12
	v_or3_b32 v3, v3, v4, 0x1000
	v_mov_b32_e32 v4, -1
.LBB3_1:                                ; =>This Inner Loop Header: Depth=1
	v_add_nc_u32_e32 v2, 32, v2
	ds_write_b32 v3, v4
	v_add_nc_u32_e32 v3, 0x80, v3
	v_cmp_lt_u32_e32 vcc_lo, 0x5f, v2
	s_or_b32 s0, vcc_lo, s0
	s_andn2_b32 exec_lo, exec_lo, s0
	s_cbranch_execnz .LBB3_1
; %bb.2:
	s_or_b32 exec_lo, exec_lo, s0
	s_load_dword s0, s[4:5], 0x0
	s_lshl_b32 s1, s6, 3
	s_waitcnt lgkmcnt(0)
	buffer_gl0_inv
	v_and_or_b32 v1, 0x7fffff8, s1, v1
	v_cmp_gt_i32_e32 vcc_lo, s0, v1
	s_and_saveexec_b32 s0, vcc_lo
	s_cbranch_execz .LBB3_48
; %bb.3:
	v_lshlrev_b32_e32 v1, 2, v1
	s_load_dword s2, s[4:5], 0x50
	v_lshlrev_b32_e32 v0, 4, v0
	s_mov_b32 s0, exec_lo
	global_load_dword v3, v1, s[10:11]
	v_and_b32_e32 v0, 0xe00, v0
	v_or_b32_e32 v13, 0x1000, v0
	s_waitcnt vmcnt(0)
	v_ashrrev_i32_e32 v4, 31, v3
	v_lshlrev_b64 v[1:2], 2, v[3:4]
	v_add_co_u32 v4, vcc_lo, s16, v1
	v_add_co_ci_u32_e64 v5, null, s17, v2, vcc_lo
	v_add_co_u32 v7, vcc_lo, s22, v1
	v_add_co_ci_u32_e64 v8, null, s23, v2, vcc_lo
	global_load_dwordx2 v[5:6], v[4:5], off
	global_load_dword v4, v[7:8], off
	s_waitcnt vmcnt(1) lgkmcnt(0)
	v_subrev_nc_u32_e32 v5, s2, v5
	v_subrev_nc_u32_e32 v8, s2, v6
	v_add_nc_u32_e32 v6, v5, v12
	v_cmpx_lt_i32_e64 v6, v8
	s_cbranch_execz .LBB3_13
; %bb.4:
	v_mov_b32_e32 v9, -1
	s_mov_b32 s1, 0
	s_branch .LBB3_6
.LBB3_5:                                ;   in Loop: Header=BB3_6 Depth=1
	s_or_b32 exec_lo, exec_lo, s3
	v_add_nc_u32_e32 v6, 32, v6
	v_cmp_ge_i32_e32 vcc_lo, v6, v8
	s_or_b32 s1, vcc_lo, s1
	s_andn2_b32 exec_lo, exec_lo, s1
	s_cbranch_execz .LBB3_13
.LBB3_6:                                ; =>This Loop Header: Depth=1
                                        ;     Child Loop BB3_9 Depth 2
	v_ashrrev_i32_e32 v7, 31, v6
	s_mov_b32 s3, exec_lo
	v_lshlrev_b64 v[10:11], 2, v[6:7]
	v_add_co_u32 v10, vcc_lo, s18, v10
	v_add_co_ci_u32_e64 v11, null, s19, v11, vcc_lo
	global_load_dword v7, v[10:11], off
	s_waitcnt vmcnt(0)
	v_mul_lo_u32 v10, 0x67, v7
	v_and_b32_e32 v10, 0x7f, v10
	v_lshl_add_u32 v11, v10, 2, v13
	ds_read_b32 v14, v11
	s_waitcnt lgkmcnt(0)
	v_cmpx_ne_u32_e64 v14, v7
	s_cbranch_execz .LBB3_5
; %bb.7:                                ;   in Loop: Header=BB3_6 Depth=1
	s_mov_b32 s6, 0
                                        ; implicit-def: $sgpr7
                                        ; implicit-def: $sgpr11
                                        ; implicit-def: $sgpr10
	s_inst_prefetch 0x1
	s_branch .LBB3_9
	.p2align	6
.LBB3_8:                                ;   in Loop: Header=BB3_9 Depth=2
	s_or_b32 exec_lo, exec_lo, s24
	s_and_b32 s24, exec_lo, s11
	s_or_b32 s6, s24, s6
	s_andn2_b32 s7, s7, exec_lo
	s_and_b32 s24, s10, exec_lo
	s_or_b32 s7, s7, s24
	s_andn2_b32 exec_lo, exec_lo, s6
	s_cbranch_execz .LBB3_11
.LBB3_9:                                ;   Parent Loop BB3_6 Depth=1
                                        ; =>  This Inner Loop Header: Depth=2
	ds_cmpst_rtn_b32 v11, v11, v9, v7
	v_mov_b32_e32 v14, v10
	s_or_b32 s10, s10, exec_lo
	s_or_b32 s11, s11, exec_lo
                                        ; implicit-def: $vgpr10
	s_waitcnt lgkmcnt(0)
	v_cmp_ne_u32_e32 vcc_lo, -1, v11
                                        ; implicit-def: $vgpr11
	s_and_saveexec_b32 s24, vcc_lo
	s_cbranch_execz .LBB3_8
; %bb.10:                               ;   in Loop: Header=BB3_9 Depth=2
	v_add_nc_u32_e32 v10, 1, v14
	s_andn2_b32 s11, s11, exec_lo
	s_andn2_b32 s10, s10, exec_lo
	v_and_b32_e32 v10, 0x7f, v10
	v_lshl_add_u32 v11, v10, 2, v13
	ds_read_b32 v15, v11
	s_waitcnt lgkmcnt(0)
	v_cmp_eq_u32_e32 vcc_lo, v15, v7
	s_and_b32 s25, vcc_lo, exec_lo
	s_or_b32 s11, s11, s25
	s_branch .LBB3_8
.LBB3_11:                               ;   in Loop: Header=BB3_6 Depth=1
	s_inst_prefetch 0x2
	s_or_b32 exec_lo, exec_lo, s6
	s_and_saveexec_b32 s6, s7
	s_xor_b32 s6, exec_lo, s6
	s_cbranch_execz .LBB3_5
; %bb.12:                               ;   in Loop: Header=BB3_6 Depth=1
	v_lshl_add_u32 v7, v14, 2, v0
	ds_write_b32 v7, v6
	s_branch .LBB3_5
.LBB3_13:
	s_or_b32 exec_lo, exec_lo, s0
	v_mov_b32_e32 v14, 0
	s_mov_b32 s3, exec_lo
	s_waitcnt vmcnt(0) lgkmcnt(0)
	buffer_gl0_inv
	v_cmpx_lt_i32_e64 v5, v4
	s_cbranch_execz .LBB3_35
; %bb.14:
	v_mbcnt_lo_u32_b32 v15, -1, 0
	v_add_nc_u32_e32 v16, -1, v4
	v_subrev_nc_u32_e32 v17, s2, v12
	v_cmp_eq_u32_e64 s0, 31, v12
	v_mov_b32_e32 v14, 0
	v_xor_b32_e32 v18, 16, v15
	v_xor_b32_e32 v19, 8, v15
	;; [unrolled: 1-line block ×5, first 2 shown]
	s_mov_b32 s6, 0
	s_branch .LBB3_17
.LBB3_15:                               ;   in Loop: Header=BB3_17 Depth=1
	s_or_b32 exec_lo, exec_lo, s10
.LBB3_16:                               ;   in Loop: Header=BB3_17 Depth=1
	s_or_b32 exec_lo, exec_lo, s7
	v_add_nc_u32_e32 v5, 1, v5
	s_xor_b32 s1, s1, -1
	v_cmp_ge_i32_e32 vcc_lo, v5, v4
	s_or_b32 s1, s1, vcc_lo
	s_and_b32 s1, exec_lo, s1
	s_or_b32 s6, s1, s6
	s_andn2_b32 exec_lo, exec_lo, s6
	s_cbranch_execz .LBB3_34
.LBB3_17:                               ; =>This Loop Header: Depth=1
                                        ;     Child Loop BB3_18 Depth 2
                                        ;     Child Loop BB3_24 Depth 2
                                        ;       Child Loop BB3_27 Depth 3
	v_ashrrev_i32_e32 v6, 31, v5
	s_mov_b32 s1, 0
	v_lshlrev_b64 v[6:7], 2, v[5:6]
	v_add_co_u32 v8, vcc_lo, s18, v6
	s_waitcnt lgkmcnt(0)
	v_add_co_ci_u32_e64 v9, null, s19, v7, vcc_lo
	v_add_co_u32 v6, vcc_lo, s20, v6
	v_add_co_ci_u32_e64 v7, null, s21, v7, vcc_lo
	global_load_dword v8, v[8:9], off
	s_waitcnt vmcnt(0)
	v_subrev_nc_u32_e32 v8, s2, v8
	v_ashrrev_i32_e32 v9, 31, v8
	v_lshlrev_b64 v[8:9], 2, v[8:9]
	v_add_co_u32 v10, vcc_lo, s16, v8
	v_add_co_ci_u32_e64 v11, null, s17, v9, vcc_lo
	v_add_co_u32 v24, vcc_lo, s22, v8
	v_add_co_ci_u32_e64 v25, null, s23, v9, vcc_lo
	global_load_dword v23, v[6:7], off
	global_load_dword v10, v[10:11], off
	global_load_dword v11, v[24:25], off
	v_add_co_u32 v8, vcc_lo, s8, v8
	v_add_co_ci_u32_e64 v9, null, s9, v9, vcc_lo
.LBB3_18:                               ;   Parent Loop BB3_17 Depth=1
                                        ; =>  This Inner Loop Header: Depth=2
	global_load_dword v24, v[8:9], off glc dlc
	s_waitcnt vmcnt(0)
	v_cmp_ne_u32_e32 vcc_lo, 0, v24
	s_or_b32 s1, vcc_lo, s1
	s_andn2_b32 exec_lo, exec_lo, s1
	s_cbranch_execnz .LBB3_18
; %bb.19:                               ;   in Loop: Header=BB3_17 Depth=1
	s_or_b32 exec_lo, exec_lo, s1
	v_cmp_eq_u32_e32 vcc_lo, -1, v11
	buffer_gl1_inv
	buffer_gl0_inv
	v_cndmask_b32_e32 v8, v11, v16, vcc_lo
	v_ashrrev_i32_e32 v9, 31, v8
	v_lshlrev_b64 v[24:25], 2, v[8:9]
	v_add_co_u32 v24, vcc_lo, s20, v24
	v_add_co_ci_u32_e64 v25, null, s21, v25, vcc_lo
	global_load_dword v24, v[24:25], off
	s_waitcnt vmcnt(0)
	v_cmp_neq_f32_e64 s1, 0, v24
	s_and_saveexec_b32 s7, s1
	s_cbranch_execz .LBB3_16
; %bb.20:                               ;   in Loop: Header=BB3_17 Depth=1
	v_add_nc_u32_e32 v9, v17, v10
	v_mov_b32_e32 v25, 0
	s_mov_b32 s10, exec_lo
	v_cmpx_lt_i32_e64 v9, v8
	s_cbranch_execz .LBB3_32
; %bb.21:                               ;   in Loop: Header=BB3_17 Depth=1
	v_mov_b32_e32 v25, 0
	s_mov_b32 s11, 0
	s_branch .LBB3_24
.LBB3_22:                               ;   in Loop: Header=BB3_24 Depth=2
	s_or_b32 exec_lo, exec_lo, s25
.LBB3_23:                               ;   in Loop: Header=BB3_24 Depth=2
	s_or_b32 exec_lo, exec_lo, s24
	v_add_nc_u32_e32 v9, 32, v9
	v_cmp_ge_i32_e32 vcc_lo, v9, v8
	s_or_b32 s11, vcc_lo, s11
	s_andn2_b32 exec_lo, exec_lo, s11
	s_cbranch_execz .LBB3_31
.LBB3_24:                               ;   Parent Loop BB3_17 Depth=1
                                        ; =>  This Loop Header: Depth=2
                                        ;       Child Loop BB3_27 Depth 3
	v_ashrrev_i32_e32 v10, 31, v9
	s_mov_b32 s24, exec_lo
	v_lshlrev_b64 v[10:11], 2, v[9:10]
	v_add_co_u32 v26, vcc_lo, s18, v10
	v_add_co_ci_u32_e64 v27, null, s19, v11, vcc_lo
	global_load_dword v26, v[26:27], off
	s_waitcnt vmcnt(0)
	v_mul_lo_u32 v27, 0x67, v26
	v_and_b32_e32 v29, 0x7f, v27
	v_lshl_add_u32 v27, v29, 2, v13
	ds_read_b32 v28, v27
	s_waitcnt lgkmcnt(0)
	v_cmpx_ne_u32_e32 -1, v28
	s_cbranch_execz .LBB3_23
; %bb.25:                               ;   in Loop: Header=BB3_24 Depth=2
	s_mov_b32 s25, 0
                                        ; implicit-def: $sgpr26
                                        ; implicit-def: $sgpr28
                                        ; implicit-def: $sgpr27
	s_inst_prefetch 0x1
	s_branch .LBB3_27
	.p2align	6
.LBB3_26:                               ;   in Loop: Header=BB3_27 Depth=3
	s_or_b32 exec_lo, exec_lo, s29
	s_and_b32 s29, exec_lo, s28
	s_or_b32 s25, s29, s25
	s_andn2_b32 s26, s26, exec_lo
	s_and_b32 s29, s27, exec_lo
	s_or_b32 s26, s26, s29
	s_andn2_b32 exec_lo, exec_lo, s25
	s_cbranch_execz .LBB3_29
.LBB3_27:                               ;   Parent Loop BB3_17 Depth=1
                                        ;     Parent Loop BB3_24 Depth=2
                                        ; =>    This Inner Loop Header: Depth=3
	v_mov_b32_e32 v27, v29
	v_cmp_ne_u32_e32 vcc_lo, v28, v26
	s_or_b32 s27, s27, exec_lo
	s_or_b32 s28, s28, exec_lo
                                        ; implicit-def: $vgpr29
                                        ; implicit-def: $vgpr28
	s_and_saveexec_b32 s29, vcc_lo
	s_cbranch_execz .LBB3_26
; %bb.28:                               ;   in Loop: Header=BB3_27 Depth=3
	v_add_nc_u32_e32 v28, 1, v27
	s_andn2_b32 s28, s28, exec_lo
	s_andn2_b32 s27, s27, exec_lo
	v_and_b32_e32 v29, 0x7f, v28
	v_lshl_add_u32 v28, v29, 2, v13
	ds_read_b32 v28, v28
	s_waitcnt lgkmcnt(0)
	v_cmp_eq_u32_e32 vcc_lo, -1, v28
	s_and_b32 s30, vcc_lo, exec_lo
	s_or_b32 s28, s28, s30
	s_branch .LBB3_26
.LBB3_29:                               ;   in Loop: Header=BB3_24 Depth=2
	s_inst_prefetch 0x2
	s_or_b32 exec_lo, exec_lo, s25
	s_and_saveexec_b32 s25, s26
	s_xor_b32 s25, exec_lo, s25
	s_cbranch_execz .LBB3_22
; %bb.30:                               ;   in Loop: Header=BB3_24 Depth=2
	v_lshl_add_u32 v26, v27, 2, v0
	v_add_co_u32 v10, vcc_lo, s20, v10
	v_add_co_ci_u32_e64 v11, null, s21, v11, vcc_lo
	ds_read_b32 v26, v26
	s_waitcnt lgkmcnt(0)
	v_ashrrev_i32_e32 v27, 31, v26
	v_lshlrev_b64 v[26:27], 2, v[26:27]
	v_add_co_u32 v26, vcc_lo, s20, v26
	v_add_co_ci_u32_e64 v27, null, s21, v27, vcc_lo
	s_clause 0x1
	global_load_dword v10, v[10:11], off
	global_load_dword v11, v[26:27], off
	s_waitcnt vmcnt(0)
	v_fmac_f32_e32 v25, v10, v11
	s_branch .LBB3_22
.LBB3_31:                               ;   in Loop: Header=BB3_17 Depth=1
	s_or_b32 exec_lo, exec_lo, s11
.LBB3_32:                               ;   in Loop: Header=BB3_17 Depth=1
	s_or_b32 exec_lo, exec_lo, s10
	v_cmp_gt_i32_e32 vcc_lo, 32, v18
	v_cndmask_b32_e32 v8, v15, v18, vcc_lo
	v_cmp_gt_i32_e32 vcc_lo, 32, v19
	v_lshlrev_b32_e32 v8, 2, v8
	v_cndmask_b32_e32 v9, v15, v19, vcc_lo
	v_cmp_gt_i32_e32 vcc_lo, 32, v20
	ds_bpermute_b32 v8, v8, v25
	v_lshlrev_b32_e32 v9, 2, v9
	v_cndmask_b32_e32 v10, v15, v20, vcc_lo
	v_cmp_gt_i32_e32 vcc_lo, 32, v21
	v_lshlrev_b32_e32 v10, 2, v10
	s_waitcnt lgkmcnt(0)
	v_add_f32_e32 v8, v25, v8
	ds_bpermute_b32 v9, v9, v8
	s_waitcnt lgkmcnt(0)
	v_add_f32_e32 v8, v8, v9
	ds_bpermute_b32 v9, v10, v8
	v_cndmask_b32_e32 v10, v15, v21, vcc_lo
	v_cmp_gt_i32_e32 vcc_lo, 32, v22
	v_lshlrev_b32_e32 v10, 2, v10
	s_waitcnt lgkmcnt(0)
	v_add_f32_e32 v8, v8, v9
	ds_bpermute_b32 v9, v10, v8
	v_cndmask_b32_e32 v10, v15, v22, vcc_lo
	s_waitcnt lgkmcnt(0)
	v_add_f32_e32 v8, v8, v9
	v_lshlrev_b32_e32 v9, 2, v10
	ds_bpermute_b32 v9, v9, v8
	s_and_saveexec_b32 s10, s0
	s_cbranch_execz .LBB3_15
; %bb.33:                               ;   in Loop: Header=BB3_17 Depth=1
	v_div_scale_f32 v10, null, v24, v24, 1.0
	v_div_scale_f32 v26, vcc_lo, 1.0, v24, 1.0
	s_waitcnt lgkmcnt(0)
	v_add_f32_e32 v8, v8, v9
	v_rcp_f32_e32 v11, v10
	v_sub_f32_e32 v8, v23, v8
	v_fma_f32 v25, -v10, v11, 1.0
	v_fmac_f32_e32 v11, v25, v11
	v_mul_f32_e32 v25, v26, v11
	v_fma_f32 v27, -v10, v25, v26
	v_fmac_f32_e32 v25, v27, v11
	v_fma_f32 v10, -v10, v25, v26
	v_div_fmas_f32 v10, v10, v11, v25
	v_div_fixup_f32 v9, v10, v24, 1.0
	v_mul_f32_e32 v8, v9, v8
	v_fmac_f32_e32 v14, v8, v8
	global_store_dword v[6:7], v8, off
	s_branch .LBB3_15
.LBB3_34:
	s_or_b32 exec_lo, exec_lo, s6
.LBB3_35:
	s_or_b32 exec_lo, exec_lo, s3
	v_cmp_eq_u32_e32 vcc_lo, 31, v12
	v_cmp_lt_i32_e64 s0, -1, v4
	s_and_b32 s0, vcc_lo, s0
	s_and_saveexec_b32 s3, s0
	s_cbranch_execz .LBB3_46
; %bb.36:
	v_mov_b32_e32 v5, 0
	v_lshlrev_b64 v[4:5], 2, v[4:5]
	v_add_co_u32 v4, s0, s20, v4
	v_add_co_ci_u32_e64 v5, null, s21, v5, s0
	s_load_dwordx2 s[0:1], s[4:5], 0x48
	global_load_dword v0, v[4:5], off
	s_waitcnt lgkmcnt(0)
	v_mul_f64 v[7:8], s[0:1], s[0:1]
	s_mov_b32 s1, exec_lo
	s_waitcnt vmcnt(0)
	v_sub_f32_e32 v6, v0, v14
	v_add_nc_u32_e32 v0, s2, v3
	v_cvt_f64_f32_e32 v[9:10], v6
	v_cmpx_ge_f64_e32 v[7:8], v[9:10]
	s_cbranch_execz .LBB3_41
; %bb.37:
	s_mov_b32 s0, exec_lo
	s_brev_b32 s2, -2
.LBB3_38:                               ; =>This Inner Loop Header: Depth=1
	s_ff1_i32_b32 s4, s0
	v_readlane_b32 s5, v0, s4
	s_lshl_b32 s4, 1, s4
	s_andn2_b32 s0, s0, s4
	s_min_i32 s2, s2, s5
	s_cmp_lg_u32 s0, 0
	s_cbranch_scc1 .LBB3_38
; %bb.39:
	v_mbcnt_lo_u32_b32 v3, exec_lo, 0
	s_mov_b32 s4, exec_lo
	v_cmpx_eq_u32_e32 0, v3
	s_xor_b32 s4, exec_lo, s4
	s_cbranch_execz .LBB3_41
; %bb.40:
	v_mov_b32_e32 v3, 0
	v_mov_b32_e32 v7, s2
	global_atomic_smin v3, v7, s[14:15]
.LBB3_41:
	s_or_b32 exec_lo, exec_lo, s1
	v_cmp_gt_f32_e64 s0, 0, v6
	v_cndmask_b32_e64 v3, v6, -v6, s0
	v_mul_f32_e32 v7, 0x4f800000, v3
	v_cmp_gt_f32_e64 s0, 0xf800000, v3
	v_cndmask_b32_e64 v3, v3, v7, s0
	v_sqrt_f32_e32 v7, v3
	v_add_nc_u32_e32 v8, -1, v7
	v_add_nc_u32_e32 v9, 1, v7
	v_fma_f32 v10, -v8, v7, v3
	v_fma_f32 v11, -v9, v7, v3
	v_cmp_ge_f32_e64 s1, 0, v10
	v_cndmask_b32_e64 v7, v7, v8, s1
	v_cmp_lt_f32_e64 s1, 0, v11
	v_cndmask_b32_e64 v7, v7, v9, s1
	v_mul_f32_e32 v8, 0x37800000, v7
	v_cndmask_b32_e64 v7, v7, v8, s0
	v_cmp_class_f32_e64 s0, v3, 0x260
	v_cndmask_b32_e64 v3, v7, v3, s0
	v_cmp_eq_f32_e64 s0, 0, v6
	global_store_dword v[4:5], v3, off
	s_and_b32 exec_lo, exec_lo, s0
	s_cbranch_execz .LBB3_46
; %bb.42:
	s_mov_b32 s0, exec_lo
	s_brev_b32 s1, -2
.LBB3_43:                               ; =>This Inner Loop Header: Depth=1
	s_ff1_i32_b32 s2, s0
	v_readlane_b32 s4, v0, s2
	s_lshl_b32 s2, 1, s2
	s_andn2_b32 s0, s0, s2
	s_min_i32 s1, s1, s4
	s_cmp_lg_u32 s0, 0
	s_cbranch_scc1 .LBB3_43
; %bb.44:
	v_mbcnt_lo_u32_b32 v0, exec_lo, 0
	s_mov_b32 s2, exec_lo
	v_cmpx_eq_u32_e32 0, v0
	s_xor_b32 s2, exec_lo, s2
	s_cbranch_execz .LBB3_46
; %bb.45:
	v_mov_b32_e32 v0, 0
	v_mov_b32_e32 v3, s1
	global_atomic_smin v0, v3, s[12:13]
.LBB3_46:
	s_or_b32 exec_lo, exec_lo, s3
	s_and_b32 exec_lo, exec_lo, vcc_lo
	s_cbranch_execz .LBB3_48
; %bb.47:
	v_add_co_u32 v0, vcc_lo, s8, v1
	v_add_co_ci_u32_e64 v1, null, s9, v2, vcc_lo
	v_mov_b32_e32 v2, 1
	s_waitcnt lgkmcnt(0)
	s_waitcnt_vscnt null, 0x0
	global_store_dword v[0:1], v2, off
.LBB3_48:
	s_endpgm
	.section	.rodata,"a",@progbits
	.p2align	6, 0x0
	.amdhsa_kernel _ZN9rocsparseL18csric0_hash_kernelILj256ELj32ELj4EfEEviPKiS2_PT2_S2_PiS2_S5_S5_d21rocsparse_index_base_
		.amdhsa_group_segment_fixed_size 8192
		.amdhsa_private_segment_fixed_size 0
		.amdhsa_kernarg_size 84
		.amdhsa_user_sgpr_count 6
		.amdhsa_user_sgpr_private_segment_buffer 1
		.amdhsa_user_sgpr_dispatch_ptr 0
		.amdhsa_user_sgpr_queue_ptr 0
		.amdhsa_user_sgpr_kernarg_segment_ptr 1
		.amdhsa_user_sgpr_dispatch_id 0
		.amdhsa_user_sgpr_flat_scratch_init 0
		.amdhsa_user_sgpr_private_segment_size 0
		.amdhsa_wavefront_size32 1
		.amdhsa_uses_dynamic_stack 0
		.amdhsa_system_sgpr_private_segment_wavefront_offset 0
		.amdhsa_system_sgpr_workgroup_id_x 1
		.amdhsa_system_sgpr_workgroup_id_y 0
		.amdhsa_system_sgpr_workgroup_id_z 0
		.amdhsa_system_sgpr_workgroup_info 0
		.amdhsa_system_vgpr_workitem_id 0
		.amdhsa_next_free_vgpr 30
		.amdhsa_next_free_sgpr 31
		.amdhsa_reserve_vcc 1
		.amdhsa_reserve_flat_scratch 0
		.amdhsa_float_round_mode_32 0
		.amdhsa_float_round_mode_16_64 0
		.amdhsa_float_denorm_mode_32 3
		.amdhsa_float_denorm_mode_16_64 3
		.amdhsa_dx10_clamp 1
		.amdhsa_ieee_mode 1
		.amdhsa_fp16_overflow 0
		.amdhsa_workgroup_processor_mode 1
		.amdhsa_memory_ordered 1
		.amdhsa_forward_progress 1
		.amdhsa_shared_vgpr_count 0
		.amdhsa_exception_fp_ieee_invalid_op 0
		.amdhsa_exception_fp_denorm_src 0
		.amdhsa_exception_fp_ieee_div_zero 0
		.amdhsa_exception_fp_ieee_overflow 0
		.amdhsa_exception_fp_ieee_underflow 0
		.amdhsa_exception_fp_ieee_inexact 0
		.amdhsa_exception_int_div_zero 0
	.end_amdhsa_kernel
	.section	.text._ZN9rocsparseL18csric0_hash_kernelILj256ELj32ELj4EfEEviPKiS2_PT2_S2_PiS2_S5_S5_d21rocsparse_index_base_,"axG",@progbits,_ZN9rocsparseL18csric0_hash_kernelILj256ELj32ELj4EfEEviPKiS2_PT2_S2_PiS2_S5_S5_d21rocsparse_index_base_,comdat
.Lfunc_end3:
	.size	_ZN9rocsparseL18csric0_hash_kernelILj256ELj32ELj4EfEEviPKiS2_PT2_S2_PiS2_S5_S5_d21rocsparse_index_base_, .Lfunc_end3-_ZN9rocsparseL18csric0_hash_kernelILj256ELj32ELj4EfEEviPKiS2_PT2_S2_PiS2_S5_S5_d21rocsparse_index_base_
                                        ; -- End function
	.set _ZN9rocsparseL18csric0_hash_kernelILj256ELj32ELj4EfEEviPKiS2_PT2_S2_PiS2_S5_S5_d21rocsparse_index_base_.num_vgpr, 30
	.set _ZN9rocsparseL18csric0_hash_kernelILj256ELj32ELj4EfEEviPKiS2_PT2_S2_PiS2_S5_S5_d21rocsparse_index_base_.num_agpr, 0
	.set _ZN9rocsparseL18csric0_hash_kernelILj256ELj32ELj4EfEEviPKiS2_PT2_S2_PiS2_S5_S5_d21rocsparse_index_base_.numbered_sgpr, 31
	.set _ZN9rocsparseL18csric0_hash_kernelILj256ELj32ELj4EfEEviPKiS2_PT2_S2_PiS2_S5_S5_d21rocsparse_index_base_.num_named_barrier, 0
	.set _ZN9rocsparseL18csric0_hash_kernelILj256ELj32ELj4EfEEviPKiS2_PT2_S2_PiS2_S5_S5_d21rocsparse_index_base_.private_seg_size, 0
	.set _ZN9rocsparseL18csric0_hash_kernelILj256ELj32ELj4EfEEviPKiS2_PT2_S2_PiS2_S5_S5_d21rocsparse_index_base_.uses_vcc, 1
	.set _ZN9rocsparseL18csric0_hash_kernelILj256ELj32ELj4EfEEviPKiS2_PT2_S2_PiS2_S5_S5_d21rocsparse_index_base_.uses_flat_scratch, 0
	.set _ZN9rocsparseL18csric0_hash_kernelILj256ELj32ELj4EfEEviPKiS2_PT2_S2_PiS2_S5_S5_d21rocsparse_index_base_.has_dyn_sized_stack, 0
	.set _ZN9rocsparseL18csric0_hash_kernelILj256ELj32ELj4EfEEviPKiS2_PT2_S2_PiS2_S5_S5_d21rocsparse_index_base_.has_recursion, 0
	.set _ZN9rocsparseL18csric0_hash_kernelILj256ELj32ELj4EfEEviPKiS2_PT2_S2_PiS2_S5_S5_d21rocsparse_index_base_.has_indirect_call, 0
	.section	.AMDGPU.csdata,"",@progbits
; Kernel info:
; codeLenInByte = 2192
; TotalNumSgprs: 33
; NumVgprs: 30
; ScratchSize: 0
; MemoryBound: 0
; FloatMode: 240
; IeeeMode: 1
; LDSByteSize: 8192 bytes/workgroup (compile time only)
; SGPRBlocks: 0
; VGPRBlocks: 3
; NumSGPRsForWavesPerEU: 33
; NumVGPRsForWavesPerEU: 30
; Occupancy: 16
; WaveLimiterHint : 1
; COMPUTE_PGM_RSRC2:SCRATCH_EN: 0
; COMPUTE_PGM_RSRC2:USER_SGPR: 6
; COMPUTE_PGM_RSRC2:TRAP_HANDLER: 0
; COMPUTE_PGM_RSRC2:TGID_X_EN: 1
; COMPUTE_PGM_RSRC2:TGID_Y_EN: 0
; COMPUTE_PGM_RSRC2:TGID_Z_EN: 0
; COMPUTE_PGM_RSRC2:TIDIG_COMP_CNT: 0
	.section	.text._ZN9rocsparseL18csric0_hash_kernelILj256ELj32ELj8EfEEviPKiS2_PT2_S2_PiS2_S5_S5_d21rocsparse_index_base_,"axG",@progbits,_ZN9rocsparseL18csric0_hash_kernelILj256ELj32ELj8EfEEviPKiS2_PT2_S2_PiS2_S5_S5_d21rocsparse_index_base_,comdat
	.globl	_ZN9rocsparseL18csric0_hash_kernelILj256ELj32ELj8EfEEviPKiS2_PT2_S2_PiS2_S5_S5_d21rocsparse_index_base_ ; -- Begin function _ZN9rocsparseL18csric0_hash_kernelILj256ELj32ELj8EfEEviPKiS2_PT2_S2_PiS2_S5_S5_d21rocsparse_index_base_
	.p2align	8
	.type	_ZN9rocsparseL18csric0_hash_kernelILj256ELj32ELj8EfEEviPKiS2_PT2_S2_PiS2_S5_S5_d21rocsparse_index_base_,@function
_ZN9rocsparseL18csric0_hash_kernelILj256ELj32ELj8EfEEviPKiS2_PT2_S2_PiS2_S5_S5_d21rocsparse_index_base_: ; @_ZN9rocsparseL18csric0_hash_kernelILj256ELj32ELj8EfEEviPKiS2_PT2_S2_PiS2_S5_S5_d21rocsparse_index_base_
; %bb.0:
	s_clause 0x1
	s_load_dwordx8 s[16:23], s[4:5], 0x8
	s_load_dwordx8 s[8:15], s[4:5], 0x28
	v_lshrrev_b32_e32 v1, 5, v0
	v_and_b32_e32 v12, 31, v0
	s_mov_b32 s0, 0
	v_lshlrev_b32_e32 v3, 10, v1
	v_lshlrev_b32_e32 v4, 2, v12
	v_or_b32_e32 v2, 0xffffffe0, v12
	v_or3_b32 v3, v3, v4, 0x2000
	v_mov_b32_e32 v4, -1
.LBB4_1:                                ; =>This Inner Loop Header: Depth=1
	v_add_nc_u32_e32 v2, 32, v2
	ds_write_b32 v3, v4
	v_add_nc_u32_e32 v3, 0x80, v3
	v_cmp_lt_u32_e32 vcc_lo, 0xdf, v2
	s_or_b32 s0, vcc_lo, s0
	s_andn2_b32 exec_lo, exec_lo, s0
	s_cbranch_execnz .LBB4_1
; %bb.2:
	s_or_b32 exec_lo, exec_lo, s0
	s_load_dword s0, s[4:5], 0x0
	s_lshl_b32 s1, s6, 3
	s_waitcnt lgkmcnt(0)
	buffer_gl0_inv
	v_and_or_b32 v1, 0x7fffff8, s1, v1
	v_cmp_gt_i32_e32 vcc_lo, s0, v1
	s_and_saveexec_b32 s0, vcc_lo
	s_cbranch_execz .LBB4_48
; %bb.3:
	v_lshlrev_b32_e32 v1, 2, v1
	s_load_dword s2, s[4:5], 0x50
	v_lshlrev_b32_e32 v0, 5, v0
	s_mov_b32 s0, exec_lo
	global_load_dword v3, v1, s[10:11]
	v_and_b32_e32 v0, 0x1c00, v0
	v_or_b32_e32 v13, 0x2000, v0
	s_waitcnt vmcnt(0)
	v_ashrrev_i32_e32 v4, 31, v3
	v_lshlrev_b64 v[1:2], 2, v[3:4]
	v_add_co_u32 v4, vcc_lo, s16, v1
	v_add_co_ci_u32_e64 v5, null, s17, v2, vcc_lo
	v_add_co_u32 v7, vcc_lo, s22, v1
	v_add_co_ci_u32_e64 v8, null, s23, v2, vcc_lo
	global_load_dwordx2 v[5:6], v[4:5], off
	global_load_dword v4, v[7:8], off
	s_waitcnt vmcnt(1) lgkmcnt(0)
	v_subrev_nc_u32_e32 v5, s2, v5
	v_subrev_nc_u32_e32 v8, s2, v6
	v_add_nc_u32_e32 v6, v5, v12
	v_cmpx_lt_i32_e64 v6, v8
	s_cbranch_execz .LBB4_13
; %bb.4:
	v_mov_b32_e32 v9, -1
	s_mov_b32 s1, 0
	s_branch .LBB4_6
.LBB4_5:                                ;   in Loop: Header=BB4_6 Depth=1
	s_or_b32 exec_lo, exec_lo, s3
	v_add_nc_u32_e32 v6, 32, v6
	v_cmp_ge_i32_e32 vcc_lo, v6, v8
	s_or_b32 s1, vcc_lo, s1
	s_andn2_b32 exec_lo, exec_lo, s1
	s_cbranch_execz .LBB4_13
.LBB4_6:                                ; =>This Loop Header: Depth=1
                                        ;     Child Loop BB4_9 Depth 2
	v_ashrrev_i32_e32 v7, 31, v6
	s_mov_b32 s3, exec_lo
	v_lshlrev_b64 v[10:11], 2, v[6:7]
	v_add_co_u32 v10, vcc_lo, s18, v10
	v_add_co_ci_u32_e64 v11, null, s19, v11, vcc_lo
	global_load_dword v7, v[10:11], off
	s_waitcnt vmcnt(0)
	v_mul_lo_u32 v10, 0x67, v7
	v_and_b32_e32 v10, 0xff, v10
	v_lshl_add_u32 v11, v10, 2, v13
	ds_read_b32 v14, v11
	s_waitcnt lgkmcnt(0)
	v_cmpx_ne_u32_e64 v14, v7
	s_cbranch_execz .LBB4_5
; %bb.7:                                ;   in Loop: Header=BB4_6 Depth=1
	s_mov_b32 s6, 0
                                        ; implicit-def: $sgpr7
                                        ; implicit-def: $sgpr11
                                        ; implicit-def: $sgpr10
	s_inst_prefetch 0x1
	s_branch .LBB4_9
	.p2align	6
.LBB4_8:                                ;   in Loop: Header=BB4_9 Depth=2
	s_or_b32 exec_lo, exec_lo, s24
	s_and_b32 s24, exec_lo, s11
	s_or_b32 s6, s24, s6
	s_andn2_b32 s7, s7, exec_lo
	s_and_b32 s24, s10, exec_lo
	s_or_b32 s7, s7, s24
	s_andn2_b32 exec_lo, exec_lo, s6
	s_cbranch_execz .LBB4_11
.LBB4_9:                                ;   Parent Loop BB4_6 Depth=1
                                        ; =>  This Inner Loop Header: Depth=2
	ds_cmpst_rtn_b32 v11, v11, v9, v7
	v_mov_b32_e32 v14, v10
	s_or_b32 s10, s10, exec_lo
	s_or_b32 s11, s11, exec_lo
                                        ; implicit-def: $vgpr10
	s_waitcnt lgkmcnt(0)
	v_cmp_ne_u32_e32 vcc_lo, -1, v11
                                        ; implicit-def: $vgpr11
	s_and_saveexec_b32 s24, vcc_lo
	s_cbranch_execz .LBB4_8
; %bb.10:                               ;   in Loop: Header=BB4_9 Depth=2
	v_add_nc_u32_e32 v10, 1, v14
	s_andn2_b32 s11, s11, exec_lo
	s_andn2_b32 s10, s10, exec_lo
	v_and_b32_e32 v10, 0xff, v10
	v_lshl_add_u32 v11, v10, 2, v13
	ds_read_b32 v15, v11
	s_waitcnt lgkmcnt(0)
	v_cmp_eq_u32_e32 vcc_lo, v15, v7
	s_and_b32 s25, vcc_lo, exec_lo
	s_or_b32 s11, s11, s25
	s_branch .LBB4_8
.LBB4_11:                               ;   in Loop: Header=BB4_6 Depth=1
	s_inst_prefetch 0x2
	s_or_b32 exec_lo, exec_lo, s6
	s_and_saveexec_b32 s6, s7
	s_xor_b32 s6, exec_lo, s6
	s_cbranch_execz .LBB4_5
; %bb.12:                               ;   in Loop: Header=BB4_6 Depth=1
	v_lshl_add_u32 v7, v14, 2, v0
	ds_write_b32 v7, v6
	s_branch .LBB4_5
.LBB4_13:
	s_or_b32 exec_lo, exec_lo, s0
	v_mov_b32_e32 v14, 0
	s_mov_b32 s3, exec_lo
	s_waitcnt vmcnt(0) lgkmcnt(0)
	buffer_gl0_inv
	v_cmpx_lt_i32_e64 v5, v4
	s_cbranch_execz .LBB4_35
; %bb.14:
	v_mbcnt_lo_u32_b32 v15, -1, 0
	v_add_nc_u32_e32 v16, -1, v4
	v_subrev_nc_u32_e32 v17, s2, v12
	v_cmp_eq_u32_e64 s0, 31, v12
	v_mov_b32_e32 v14, 0
	v_xor_b32_e32 v18, 16, v15
	v_xor_b32_e32 v19, 8, v15
	;; [unrolled: 1-line block ×5, first 2 shown]
	s_mov_b32 s6, 0
	s_branch .LBB4_17
.LBB4_15:                               ;   in Loop: Header=BB4_17 Depth=1
	s_or_b32 exec_lo, exec_lo, s10
.LBB4_16:                               ;   in Loop: Header=BB4_17 Depth=1
	s_or_b32 exec_lo, exec_lo, s7
	v_add_nc_u32_e32 v5, 1, v5
	s_xor_b32 s1, s1, -1
	v_cmp_ge_i32_e32 vcc_lo, v5, v4
	s_or_b32 s1, s1, vcc_lo
	s_and_b32 s1, exec_lo, s1
	s_or_b32 s6, s1, s6
	s_andn2_b32 exec_lo, exec_lo, s6
	s_cbranch_execz .LBB4_34
.LBB4_17:                               ; =>This Loop Header: Depth=1
                                        ;     Child Loop BB4_18 Depth 2
                                        ;     Child Loop BB4_24 Depth 2
                                        ;       Child Loop BB4_27 Depth 3
	v_ashrrev_i32_e32 v6, 31, v5
	s_mov_b32 s1, 0
	v_lshlrev_b64 v[6:7], 2, v[5:6]
	v_add_co_u32 v8, vcc_lo, s18, v6
	s_waitcnt lgkmcnt(0)
	v_add_co_ci_u32_e64 v9, null, s19, v7, vcc_lo
	v_add_co_u32 v6, vcc_lo, s20, v6
	v_add_co_ci_u32_e64 v7, null, s21, v7, vcc_lo
	global_load_dword v8, v[8:9], off
	s_waitcnt vmcnt(0)
	v_subrev_nc_u32_e32 v8, s2, v8
	v_ashrrev_i32_e32 v9, 31, v8
	v_lshlrev_b64 v[8:9], 2, v[8:9]
	v_add_co_u32 v10, vcc_lo, s16, v8
	v_add_co_ci_u32_e64 v11, null, s17, v9, vcc_lo
	v_add_co_u32 v24, vcc_lo, s22, v8
	v_add_co_ci_u32_e64 v25, null, s23, v9, vcc_lo
	global_load_dword v23, v[6:7], off
	global_load_dword v10, v[10:11], off
	;; [unrolled: 1-line block ×3, first 2 shown]
	v_add_co_u32 v8, vcc_lo, s8, v8
	v_add_co_ci_u32_e64 v9, null, s9, v9, vcc_lo
.LBB4_18:                               ;   Parent Loop BB4_17 Depth=1
                                        ; =>  This Inner Loop Header: Depth=2
	global_load_dword v24, v[8:9], off glc dlc
	s_waitcnt vmcnt(0)
	v_cmp_ne_u32_e32 vcc_lo, 0, v24
	s_or_b32 s1, vcc_lo, s1
	s_andn2_b32 exec_lo, exec_lo, s1
	s_cbranch_execnz .LBB4_18
; %bb.19:                               ;   in Loop: Header=BB4_17 Depth=1
	s_or_b32 exec_lo, exec_lo, s1
	v_cmp_eq_u32_e32 vcc_lo, -1, v11
	buffer_gl1_inv
	buffer_gl0_inv
	v_cndmask_b32_e32 v8, v11, v16, vcc_lo
	v_ashrrev_i32_e32 v9, 31, v8
	v_lshlrev_b64 v[24:25], 2, v[8:9]
	v_add_co_u32 v24, vcc_lo, s20, v24
	v_add_co_ci_u32_e64 v25, null, s21, v25, vcc_lo
	global_load_dword v24, v[24:25], off
	s_waitcnt vmcnt(0)
	v_cmp_neq_f32_e64 s1, 0, v24
	s_and_saveexec_b32 s7, s1
	s_cbranch_execz .LBB4_16
; %bb.20:                               ;   in Loop: Header=BB4_17 Depth=1
	v_add_nc_u32_e32 v9, v17, v10
	v_mov_b32_e32 v25, 0
	s_mov_b32 s10, exec_lo
	v_cmpx_lt_i32_e64 v9, v8
	s_cbranch_execz .LBB4_32
; %bb.21:                               ;   in Loop: Header=BB4_17 Depth=1
	v_mov_b32_e32 v25, 0
	s_mov_b32 s11, 0
	s_branch .LBB4_24
.LBB4_22:                               ;   in Loop: Header=BB4_24 Depth=2
	s_or_b32 exec_lo, exec_lo, s25
.LBB4_23:                               ;   in Loop: Header=BB4_24 Depth=2
	s_or_b32 exec_lo, exec_lo, s24
	v_add_nc_u32_e32 v9, 32, v9
	v_cmp_ge_i32_e32 vcc_lo, v9, v8
	s_or_b32 s11, vcc_lo, s11
	s_andn2_b32 exec_lo, exec_lo, s11
	s_cbranch_execz .LBB4_31
.LBB4_24:                               ;   Parent Loop BB4_17 Depth=1
                                        ; =>  This Loop Header: Depth=2
                                        ;       Child Loop BB4_27 Depth 3
	v_ashrrev_i32_e32 v10, 31, v9
	s_mov_b32 s24, exec_lo
	v_lshlrev_b64 v[10:11], 2, v[9:10]
	v_add_co_u32 v26, vcc_lo, s18, v10
	v_add_co_ci_u32_e64 v27, null, s19, v11, vcc_lo
	global_load_dword v26, v[26:27], off
	s_waitcnt vmcnt(0)
	v_mul_lo_u32 v27, 0x67, v26
	v_and_b32_e32 v29, 0xff, v27
	v_lshl_add_u32 v27, v29, 2, v13
	ds_read_b32 v28, v27
	s_waitcnt lgkmcnt(0)
	v_cmpx_ne_u32_e32 -1, v28
	s_cbranch_execz .LBB4_23
; %bb.25:                               ;   in Loop: Header=BB4_24 Depth=2
	s_mov_b32 s25, 0
                                        ; implicit-def: $sgpr26
                                        ; implicit-def: $sgpr28
                                        ; implicit-def: $sgpr27
	s_inst_prefetch 0x1
	s_branch .LBB4_27
	.p2align	6
.LBB4_26:                               ;   in Loop: Header=BB4_27 Depth=3
	s_or_b32 exec_lo, exec_lo, s29
	s_and_b32 s29, exec_lo, s28
	s_or_b32 s25, s29, s25
	s_andn2_b32 s26, s26, exec_lo
	s_and_b32 s29, s27, exec_lo
	s_or_b32 s26, s26, s29
	s_andn2_b32 exec_lo, exec_lo, s25
	s_cbranch_execz .LBB4_29
.LBB4_27:                               ;   Parent Loop BB4_17 Depth=1
                                        ;     Parent Loop BB4_24 Depth=2
                                        ; =>    This Inner Loop Header: Depth=3
	v_mov_b32_e32 v27, v29
	v_cmp_ne_u32_e32 vcc_lo, v28, v26
	s_or_b32 s27, s27, exec_lo
	s_or_b32 s28, s28, exec_lo
                                        ; implicit-def: $vgpr29
                                        ; implicit-def: $vgpr28
	s_and_saveexec_b32 s29, vcc_lo
	s_cbranch_execz .LBB4_26
; %bb.28:                               ;   in Loop: Header=BB4_27 Depth=3
	v_add_nc_u32_e32 v28, 1, v27
	s_andn2_b32 s28, s28, exec_lo
	s_andn2_b32 s27, s27, exec_lo
	v_and_b32_e32 v29, 0xff, v28
	v_lshl_add_u32 v28, v29, 2, v13
	ds_read_b32 v28, v28
	s_waitcnt lgkmcnt(0)
	v_cmp_eq_u32_e32 vcc_lo, -1, v28
	s_and_b32 s30, vcc_lo, exec_lo
	s_or_b32 s28, s28, s30
	s_branch .LBB4_26
.LBB4_29:                               ;   in Loop: Header=BB4_24 Depth=2
	s_inst_prefetch 0x2
	s_or_b32 exec_lo, exec_lo, s25
	s_and_saveexec_b32 s25, s26
	s_xor_b32 s25, exec_lo, s25
	s_cbranch_execz .LBB4_22
; %bb.30:                               ;   in Loop: Header=BB4_24 Depth=2
	v_lshl_add_u32 v26, v27, 2, v0
	v_add_co_u32 v10, vcc_lo, s20, v10
	v_add_co_ci_u32_e64 v11, null, s21, v11, vcc_lo
	ds_read_b32 v26, v26
	s_waitcnt lgkmcnt(0)
	v_ashrrev_i32_e32 v27, 31, v26
	v_lshlrev_b64 v[26:27], 2, v[26:27]
	v_add_co_u32 v26, vcc_lo, s20, v26
	v_add_co_ci_u32_e64 v27, null, s21, v27, vcc_lo
	s_clause 0x1
	global_load_dword v10, v[10:11], off
	global_load_dword v11, v[26:27], off
	s_waitcnt vmcnt(0)
	v_fmac_f32_e32 v25, v10, v11
	s_branch .LBB4_22
.LBB4_31:                               ;   in Loop: Header=BB4_17 Depth=1
	s_or_b32 exec_lo, exec_lo, s11
.LBB4_32:                               ;   in Loop: Header=BB4_17 Depth=1
	s_or_b32 exec_lo, exec_lo, s10
	v_cmp_gt_i32_e32 vcc_lo, 32, v18
	v_cndmask_b32_e32 v8, v15, v18, vcc_lo
	v_cmp_gt_i32_e32 vcc_lo, 32, v19
	v_lshlrev_b32_e32 v8, 2, v8
	v_cndmask_b32_e32 v9, v15, v19, vcc_lo
	v_cmp_gt_i32_e32 vcc_lo, 32, v20
	ds_bpermute_b32 v8, v8, v25
	v_lshlrev_b32_e32 v9, 2, v9
	v_cndmask_b32_e32 v10, v15, v20, vcc_lo
	v_cmp_gt_i32_e32 vcc_lo, 32, v21
	v_lshlrev_b32_e32 v10, 2, v10
	s_waitcnt lgkmcnt(0)
	v_add_f32_e32 v8, v25, v8
	ds_bpermute_b32 v9, v9, v8
	s_waitcnt lgkmcnt(0)
	v_add_f32_e32 v8, v8, v9
	ds_bpermute_b32 v9, v10, v8
	v_cndmask_b32_e32 v10, v15, v21, vcc_lo
	v_cmp_gt_i32_e32 vcc_lo, 32, v22
	v_lshlrev_b32_e32 v10, 2, v10
	s_waitcnt lgkmcnt(0)
	v_add_f32_e32 v8, v8, v9
	ds_bpermute_b32 v9, v10, v8
	v_cndmask_b32_e32 v10, v15, v22, vcc_lo
	s_waitcnt lgkmcnt(0)
	v_add_f32_e32 v8, v8, v9
	v_lshlrev_b32_e32 v9, 2, v10
	ds_bpermute_b32 v9, v9, v8
	s_and_saveexec_b32 s10, s0
	s_cbranch_execz .LBB4_15
; %bb.33:                               ;   in Loop: Header=BB4_17 Depth=1
	v_div_scale_f32 v10, null, v24, v24, 1.0
	v_div_scale_f32 v26, vcc_lo, 1.0, v24, 1.0
	s_waitcnt lgkmcnt(0)
	v_add_f32_e32 v8, v8, v9
	v_rcp_f32_e32 v11, v10
	v_sub_f32_e32 v8, v23, v8
	v_fma_f32 v25, -v10, v11, 1.0
	v_fmac_f32_e32 v11, v25, v11
	v_mul_f32_e32 v25, v26, v11
	v_fma_f32 v27, -v10, v25, v26
	v_fmac_f32_e32 v25, v27, v11
	v_fma_f32 v10, -v10, v25, v26
	v_div_fmas_f32 v10, v10, v11, v25
	v_div_fixup_f32 v9, v10, v24, 1.0
	v_mul_f32_e32 v8, v9, v8
	v_fmac_f32_e32 v14, v8, v8
	global_store_dword v[6:7], v8, off
	s_branch .LBB4_15
.LBB4_34:
	s_or_b32 exec_lo, exec_lo, s6
.LBB4_35:
	s_or_b32 exec_lo, exec_lo, s3
	v_cmp_eq_u32_e32 vcc_lo, 31, v12
	v_cmp_lt_i32_e64 s0, -1, v4
	s_and_b32 s0, vcc_lo, s0
	s_and_saveexec_b32 s3, s0
	s_cbranch_execz .LBB4_46
; %bb.36:
	v_mov_b32_e32 v5, 0
	v_lshlrev_b64 v[4:5], 2, v[4:5]
	v_add_co_u32 v4, s0, s20, v4
	v_add_co_ci_u32_e64 v5, null, s21, v5, s0
	s_load_dwordx2 s[0:1], s[4:5], 0x48
	global_load_dword v0, v[4:5], off
	s_waitcnt lgkmcnt(0)
	v_mul_f64 v[7:8], s[0:1], s[0:1]
	s_mov_b32 s1, exec_lo
	s_waitcnt vmcnt(0)
	v_sub_f32_e32 v6, v0, v14
	v_add_nc_u32_e32 v0, s2, v3
	v_cvt_f64_f32_e32 v[9:10], v6
	v_cmpx_ge_f64_e32 v[7:8], v[9:10]
	s_cbranch_execz .LBB4_41
; %bb.37:
	s_mov_b32 s0, exec_lo
	s_brev_b32 s2, -2
.LBB4_38:                               ; =>This Inner Loop Header: Depth=1
	s_ff1_i32_b32 s4, s0
	v_readlane_b32 s5, v0, s4
	s_lshl_b32 s4, 1, s4
	s_andn2_b32 s0, s0, s4
	s_min_i32 s2, s2, s5
	s_cmp_lg_u32 s0, 0
	s_cbranch_scc1 .LBB4_38
; %bb.39:
	v_mbcnt_lo_u32_b32 v3, exec_lo, 0
	s_mov_b32 s4, exec_lo
	v_cmpx_eq_u32_e32 0, v3
	s_xor_b32 s4, exec_lo, s4
	s_cbranch_execz .LBB4_41
; %bb.40:
	v_mov_b32_e32 v3, 0
	v_mov_b32_e32 v7, s2
	global_atomic_smin v3, v7, s[14:15]
.LBB4_41:
	s_or_b32 exec_lo, exec_lo, s1
	v_cmp_gt_f32_e64 s0, 0, v6
	v_cndmask_b32_e64 v3, v6, -v6, s0
	v_mul_f32_e32 v7, 0x4f800000, v3
	v_cmp_gt_f32_e64 s0, 0xf800000, v3
	v_cndmask_b32_e64 v3, v3, v7, s0
	v_sqrt_f32_e32 v7, v3
	v_add_nc_u32_e32 v8, -1, v7
	v_add_nc_u32_e32 v9, 1, v7
	v_fma_f32 v10, -v8, v7, v3
	v_fma_f32 v11, -v9, v7, v3
	v_cmp_ge_f32_e64 s1, 0, v10
	v_cndmask_b32_e64 v7, v7, v8, s1
	v_cmp_lt_f32_e64 s1, 0, v11
	v_cndmask_b32_e64 v7, v7, v9, s1
	v_mul_f32_e32 v8, 0x37800000, v7
	v_cndmask_b32_e64 v7, v7, v8, s0
	v_cmp_class_f32_e64 s0, v3, 0x260
	v_cndmask_b32_e64 v3, v7, v3, s0
	v_cmp_eq_f32_e64 s0, 0, v6
	global_store_dword v[4:5], v3, off
	s_and_b32 exec_lo, exec_lo, s0
	s_cbranch_execz .LBB4_46
; %bb.42:
	s_mov_b32 s0, exec_lo
	s_brev_b32 s1, -2
.LBB4_43:                               ; =>This Inner Loop Header: Depth=1
	s_ff1_i32_b32 s2, s0
	v_readlane_b32 s4, v0, s2
	s_lshl_b32 s2, 1, s2
	s_andn2_b32 s0, s0, s2
	s_min_i32 s1, s1, s4
	s_cmp_lg_u32 s0, 0
	s_cbranch_scc1 .LBB4_43
; %bb.44:
	v_mbcnt_lo_u32_b32 v0, exec_lo, 0
	s_mov_b32 s2, exec_lo
	v_cmpx_eq_u32_e32 0, v0
	s_xor_b32 s2, exec_lo, s2
	s_cbranch_execz .LBB4_46
; %bb.45:
	v_mov_b32_e32 v0, 0
	v_mov_b32_e32 v3, s1
	global_atomic_smin v0, v3, s[12:13]
.LBB4_46:
	s_or_b32 exec_lo, exec_lo, s3
	s_and_b32 exec_lo, exec_lo, vcc_lo
	s_cbranch_execz .LBB4_48
; %bb.47:
	v_add_co_u32 v0, vcc_lo, s8, v1
	v_add_co_ci_u32_e64 v1, null, s9, v2, vcc_lo
	v_mov_b32_e32 v2, 1
	s_waitcnt lgkmcnt(0)
	s_waitcnt_vscnt null, 0x0
	global_store_dword v[0:1], v2, off
.LBB4_48:
	s_endpgm
	.section	.rodata,"a",@progbits
	.p2align	6, 0x0
	.amdhsa_kernel _ZN9rocsparseL18csric0_hash_kernelILj256ELj32ELj8EfEEviPKiS2_PT2_S2_PiS2_S5_S5_d21rocsparse_index_base_
		.amdhsa_group_segment_fixed_size 16384
		.amdhsa_private_segment_fixed_size 0
		.amdhsa_kernarg_size 84
		.amdhsa_user_sgpr_count 6
		.amdhsa_user_sgpr_private_segment_buffer 1
		.amdhsa_user_sgpr_dispatch_ptr 0
		.amdhsa_user_sgpr_queue_ptr 0
		.amdhsa_user_sgpr_kernarg_segment_ptr 1
		.amdhsa_user_sgpr_dispatch_id 0
		.amdhsa_user_sgpr_flat_scratch_init 0
		.amdhsa_user_sgpr_private_segment_size 0
		.amdhsa_wavefront_size32 1
		.amdhsa_uses_dynamic_stack 0
		.amdhsa_system_sgpr_private_segment_wavefront_offset 0
		.amdhsa_system_sgpr_workgroup_id_x 1
		.amdhsa_system_sgpr_workgroup_id_y 0
		.amdhsa_system_sgpr_workgroup_id_z 0
		.amdhsa_system_sgpr_workgroup_info 0
		.amdhsa_system_vgpr_workitem_id 0
		.amdhsa_next_free_vgpr 30
		.amdhsa_next_free_sgpr 31
		.amdhsa_reserve_vcc 1
		.amdhsa_reserve_flat_scratch 0
		.amdhsa_float_round_mode_32 0
		.amdhsa_float_round_mode_16_64 0
		.amdhsa_float_denorm_mode_32 3
		.amdhsa_float_denorm_mode_16_64 3
		.amdhsa_dx10_clamp 1
		.amdhsa_ieee_mode 1
		.amdhsa_fp16_overflow 0
		.amdhsa_workgroup_processor_mode 1
		.amdhsa_memory_ordered 1
		.amdhsa_forward_progress 1
		.amdhsa_shared_vgpr_count 0
		.amdhsa_exception_fp_ieee_invalid_op 0
		.amdhsa_exception_fp_denorm_src 0
		.amdhsa_exception_fp_ieee_div_zero 0
		.amdhsa_exception_fp_ieee_overflow 0
		.amdhsa_exception_fp_ieee_underflow 0
		.amdhsa_exception_fp_ieee_inexact 0
		.amdhsa_exception_int_div_zero 0
	.end_amdhsa_kernel
	.section	.text._ZN9rocsparseL18csric0_hash_kernelILj256ELj32ELj8EfEEviPKiS2_PT2_S2_PiS2_S5_S5_d21rocsparse_index_base_,"axG",@progbits,_ZN9rocsparseL18csric0_hash_kernelILj256ELj32ELj8EfEEviPKiS2_PT2_S2_PiS2_S5_S5_d21rocsparse_index_base_,comdat
.Lfunc_end4:
	.size	_ZN9rocsparseL18csric0_hash_kernelILj256ELj32ELj8EfEEviPKiS2_PT2_S2_PiS2_S5_S5_d21rocsparse_index_base_, .Lfunc_end4-_ZN9rocsparseL18csric0_hash_kernelILj256ELj32ELj8EfEEviPKiS2_PT2_S2_PiS2_S5_S5_d21rocsparse_index_base_
                                        ; -- End function
	.set _ZN9rocsparseL18csric0_hash_kernelILj256ELj32ELj8EfEEviPKiS2_PT2_S2_PiS2_S5_S5_d21rocsparse_index_base_.num_vgpr, 30
	.set _ZN9rocsparseL18csric0_hash_kernelILj256ELj32ELj8EfEEviPKiS2_PT2_S2_PiS2_S5_S5_d21rocsparse_index_base_.num_agpr, 0
	.set _ZN9rocsparseL18csric0_hash_kernelILj256ELj32ELj8EfEEviPKiS2_PT2_S2_PiS2_S5_S5_d21rocsparse_index_base_.numbered_sgpr, 31
	.set _ZN9rocsparseL18csric0_hash_kernelILj256ELj32ELj8EfEEviPKiS2_PT2_S2_PiS2_S5_S5_d21rocsparse_index_base_.num_named_barrier, 0
	.set _ZN9rocsparseL18csric0_hash_kernelILj256ELj32ELj8EfEEviPKiS2_PT2_S2_PiS2_S5_S5_d21rocsparse_index_base_.private_seg_size, 0
	.set _ZN9rocsparseL18csric0_hash_kernelILj256ELj32ELj8EfEEviPKiS2_PT2_S2_PiS2_S5_S5_d21rocsparse_index_base_.uses_vcc, 1
	.set _ZN9rocsparseL18csric0_hash_kernelILj256ELj32ELj8EfEEviPKiS2_PT2_S2_PiS2_S5_S5_d21rocsparse_index_base_.uses_flat_scratch, 0
	.set _ZN9rocsparseL18csric0_hash_kernelILj256ELj32ELj8EfEEviPKiS2_PT2_S2_PiS2_S5_S5_d21rocsparse_index_base_.has_dyn_sized_stack, 0
	.set _ZN9rocsparseL18csric0_hash_kernelILj256ELj32ELj8EfEEviPKiS2_PT2_S2_PiS2_S5_S5_d21rocsparse_index_base_.has_recursion, 0
	.set _ZN9rocsparseL18csric0_hash_kernelILj256ELj32ELj8EfEEviPKiS2_PT2_S2_PiS2_S5_S5_d21rocsparse_index_base_.has_indirect_call, 0
	.section	.AMDGPU.csdata,"",@progbits
; Kernel info:
; codeLenInByte = 2192
; TotalNumSgprs: 33
; NumVgprs: 30
; ScratchSize: 0
; MemoryBound: 0
; FloatMode: 240
; IeeeMode: 1
; LDSByteSize: 16384 bytes/workgroup (compile time only)
; SGPRBlocks: 0
; VGPRBlocks: 3
; NumSGPRsForWavesPerEU: 33
; NumVGPRsForWavesPerEU: 30
; Occupancy: 16
; WaveLimiterHint : 1
; COMPUTE_PGM_RSRC2:SCRATCH_EN: 0
; COMPUTE_PGM_RSRC2:USER_SGPR: 6
; COMPUTE_PGM_RSRC2:TRAP_HANDLER: 0
; COMPUTE_PGM_RSRC2:TGID_X_EN: 1
; COMPUTE_PGM_RSRC2:TGID_Y_EN: 0
; COMPUTE_PGM_RSRC2:TGID_Z_EN: 0
; COMPUTE_PGM_RSRC2:TIDIG_COMP_CNT: 0
	.section	.text._ZN9rocsparseL18csric0_hash_kernelILj256ELj32ELj16EfEEviPKiS2_PT2_S2_PiS2_S5_S5_d21rocsparse_index_base_,"axG",@progbits,_ZN9rocsparseL18csric0_hash_kernelILj256ELj32ELj16EfEEviPKiS2_PT2_S2_PiS2_S5_S5_d21rocsparse_index_base_,comdat
	.globl	_ZN9rocsparseL18csric0_hash_kernelILj256ELj32ELj16EfEEviPKiS2_PT2_S2_PiS2_S5_S5_d21rocsparse_index_base_ ; -- Begin function _ZN9rocsparseL18csric0_hash_kernelILj256ELj32ELj16EfEEviPKiS2_PT2_S2_PiS2_S5_S5_d21rocsparse_index_base_
	.p2align	8
	.type	_ZN9rocsparseL18csric0_hash_kernelILj256ELj32ELj16EfEEviPKiS2_PT2_S2_PiS2_S5_S5_d21rocsparse_index_base_,@function
_ZN9rocsparseL18csric0_hash_kernelILj256ELj32ELj16EfEEviPKiS2_PT2_S2_PiS2_S5_S5_d21rocsparse_index_base_: ; @_ZN9rocsparseL18csric0_hash_kernelILj256ELj32ELj16EfEEviPKiS2_PT2_S2_PiS2_S5_S5_d21rocsparse_index_base_
; %bb.0:
	s_clause 0x1
	s_load_dwordx8 s[16:23], s[4:5], 0x8
	s_load_dwordx8 s[8:15], s[4:5], 0x28
	v_lshrrev_b32_e32 v1, 5, v0
	v_and_b32_e32 v12, 31, v0
	s_mov_b32 s0, 0
	v_lshlrev_b32_e32 v3, 11, v1
	v_lshlrev_b32_e32 v4, 2, v12
	v_or_b32_e32 v2, 0xffffffe0, v12
	v_or3_b32 v3, v3, v4, 0x4000
	v_mov_b32_e32 v4, -1
.LBB5_1:                                ; =>This Inner Loop Header: Depth=1
	v_add_nc_u32_e32 v2, 32, v2
	ds_write_b32 v3, v4
	v_add_nc_u32_e32 v3, 0x80, v3
	v_cmp_lt_u32_e32 vcc_lo, 0x1df, v2
	s_or_b32 s0, vcc_lo, s0
	s_andn2_b32 exec_lo, exec_lo, s0
	s_cbranch_execnz .LBB5_1
; %bb.2:
	s_or_b32 exec_lo, exec_lo, s0
	s_load_dword s0, s[4:5], 0x0
	s_lshl_b32 s1, s6, 3
	s_waitcnt lgkmcnt(0)
	buffer_gl0_inv
	v_and_or_b32 v1, 0x7fffff8, s1, v1
	v_cmp_gt_i32_e32 vcc_lo, s0, v1
	s_and_saveexec_b32 s0, vcc_lo
	s_cbranch_execz .LBB5_48
; %bb.3:
	v_lshlrev_b32_e32 v1, 2, v1
	s_load_dword s2, s[4:5], 0x50
	v_lshlrev_b32_e32 v0, 6, v0
	s_mov_b32 s0, exec_lo
	global_load_dword v3, v1, s[10:11]
	v_and_b32_e32 v0, 0x3800, v0
	v_or_b32_e32 v13, 0x4000, v0
	s_waitcnt vmcnt(0)
	v_ashrrev_i32_e32 v4, 31, v3
	v_lshlrev_b64 v[1:2], 2, v[3:4]
	v_add_co_u32 v4, vcc_lo, s16, v1
	v_add_co_ci_u32_e64 v5, null, s17, v2, vcc_lo
	v_add_co_u32 v7, vcc_lo, s22, v1
	v_add_co_ci_u32_e64 v8, null, s23, v2, vcc_lo
	global_load_dwordx2 v[5:6], v[4:5], off
	global_load_dword v4, v[7:8], off
	s_waitcnt vmcnt(1) lgkmcnt(0)
	v_subrev_nc_u32_e32 v5, s2, v5
	v_subrev_nc_u32_e32 v8, s2, v6
	v_add_nc_u32_e32 v6, v5, v12
	v_cmpx_lt_i32_e64 v6, v8
	s_cbranch_execz .LBB5_13
; %bb.4:
	v_mov_b32_e32 v9, -1
	s_mov_b32 s1, 0
	s_branch .LBB5_6
.LBB5_5:                                ;   in Loop: Header=BB5_6 Depth=1
	s_or_b32 exec_lo, exec_lo, s3
	v_add_nc_u32_e32 v6, 32, v6
	v_cmp_ge_i32_e32 vcc_lo, v6, v8
	s_or_b32 s1, vcc_lo, s1
	s_andn2_b32 exec_lo, exec_lo, s1
	s_cbranch_execz .LBB5_13
.LBB5_6:                                ; =>This Loop Header: Depth=1
                                        ;     Child Loop BB5_9 Depth 2
	v_ashrrev_i32_e32 v7, 31, v6
	s_mov_b32 s3, exec_lo
	v_lshlrev_b64 v[10:11], 2, v[6:7]
	v_add_co_u32 v10, vcc_lo, s18, v10
	v_add_co_ci_u32_e64 v11, null, s19, v11, vcc_lo
	global_load_dword v7, v[10:11], off
	s_waitcnt vmcnt(0)
	v_mul_lo_u32 v10, 0x67, v7
	v_and_b32_e32 v10, 0x1ff, v10
	v_lshl_add_u32 v11, v10, 2, v13
	ds_read_b32 v14, v11
	s_waitcnt lgkmcnt(0)
	v_cmpx_ne_u32_e64 v14, v7
	s_cbranch_execz .LBB5_5
; %bb.7:                                ;   in Loop: Header=BB5_6 Depth=1
	s_mov_b32 s6, 0
                                        ; implicit-def: $sgpr7
                                        ; implicit-def: $sgpr11
                                        ; implicit-def: $sgpr10
	s_inst_prefetch 0x1
	s_branch .LBB5_9
	.p2align	6
.LBB5_8:                                ;   in Loop: Header=BB5_9 Depth=2
	s_or_b32 exec_lo, exec_lo, s24
	s_and_b32 s24, exec_lo, s11
	s_or_b32 s6, s24, s6
	s_andn2_b32 s7, s7, exec_lo
	s_and_b32 s24, s10, exec_lo
	s_or_b32 s7, s7, s24
	s_andn2_b32 exec_lo, exec_lo, s6
	s_cbranch_execz .LBB5_11
.LBB5_9:                                ;   Parent Loop BB5_6 Depth=1
                                        ; =>  This Inner Loop Header: Depth=2
	ds_cmpst_rtn_b32 v11, v11, v9, v7
	v_mov_b32_e32 v14, v10
	s_or_b32 s10, s10, exec_lo
	s_or_b32 s11, s11, exec_lo
                                        ; implicit-def: $vgpr10
	s_waitcnt lgkmcnt(0)
	v_cmp_ne_u32_e32 vcc_lo, -1, v11
                                        ; implicit-def: $vgpr11
	s_and_saveexec_b32 s24, vcc_lo
	s_cbranch_execz .LBB5_8
; %bb.10:                               ;   in Loop: Header=BB5_9 Depth=2
	v_add_nc_u32_e32 v10, 1, v14
	s_andn2_b32 s11, s11, exec_lo
	s_andn2_b32 s10, s10, exec_lo
	v_and_b32_e32 v10, 0x1ff, v10
	v_lshl_add_u32 v11, v10, 2, v13
	ds_read_b32 v15, v11
	s_waitcnt lgkmcnt(0)
	v_cmp_eq_u32_e32 vcc_lo, v15, v7
	s_and_b32 s25, vcc_lo, exec_lo
	s_or_b32 s11, s11, s25
	s_branch .LBB5_8
.LBB5_11:                               ;   in Loop: Header=BB5_6 Depth=1
	s_inst_prefetch 0x2
	s_or_b32 exec_lo, exec_lo, s6
	s_and_saveexec_b32 s6, s7
	s_xor_b32 s6, exec_lo, s6
	s_cbranch_execz .LBB5_5
; %bb.12:                               ;   in Loop: Header=BB5_6 Depth=1
	v_lshl_add_u32 v7, v14, 2, v0
	ds_write_b32 v7, v6
	s_branch .LBB5_5
.LBB5_13:
	s_or_b32 exec_lo, exec_lo, s0
	v_mov_b32_e32 v14, 0
	s_mov_b32 s3, exec_lo
	s_waitcnt vmcnt(0) lgkmcnt(0)
	buffer_gl0_inv
	v_cmpx_lt_i32_e64 v5, v4
	s_cbranch_execz .LBB5_35
; %bb.14:
	v_mbcnt_lo_u32_b32 v15, -1, 0
	v_add_nc_u32_e32 v16, -1, v4
	v_subrev_nc_u32_e32 v17, s2, v12
	v_cmp_eq_u32_e64 s0, 31, v12
	v_mov_b32_e32 v14, 0
	v_xor_b32_e32 v18, 16, v15
	v_xor_b32_e32 v19, 8, v15
	;; [unrolled: 1-line block ×5, first 2 shown]
	s_mov_b32 s6, 0
	s_branch .LBB5_17
.LBB5_15:                               ;   in Loop: Header=BB5_17 Depth=1
	s_or_b32 exec_lo, exec_lo, s10
.LBB5_16:                               ;   in Loop: Header=BB5_17 Depth=1
	s_or_b32 exec_lo, exec_lo, s7
	v_add_nc_u32_e32 v5, 1, v5
	s_xor_b32 s1, s1, -1
	v_cmp_ge_i32_e32 vcc_lo, v5, v4
	s_or_b32 s1, s1, vcc_lo
	s_and_b32 s1, exec_lo, s1
	s_or_b32 s6, s1, s6
	s_andn2_b32 exec_lo, exec_lo, s6
	s_cbranch_execz .LBB5_34
.LBB5_17:                               ; =>This Loop Header: Depth=1
                                        ;     Child Loop BB5_18 Depth 2
                                        ;     Child Loop BB5_24 Depth 2
                                        ;       Child Loop BB5_27 Depth 3
	v_ashrrev_i32_e32 v6, 31, v5
	s_mov_b32 s1, 0
	v_lshlrev_b64 v[6:7], 2, v[5:6]
	v_add_co_u32 v8, vcc_lo, s18, v6
	s_waitcnt lgkmcnt(0)
	v_add_co_ci_u32_e64 v9, null, s19, v7, vcc_lo
	v_add_co_u32 v6, vcc_lo, s20, v6
	v_add_co_ci_u32_e64 v7, null, s21, v7, vcc_lo
	global_load_dword v8, v[8:9], off
	s_waitcnt vmcnt(0)
	v_subrev_nc_u32_e32 v8, s2, v8
	v_ashrrev_i32_e32 v9, 31, v8
	v_lshlrev_b64 v[8:9], 2, v[8:9]
	v_add_co_u32 v10, vcc_lo, s16, v8
	v_add_co_ci_u32_e64 v11, null, s17, v9, vcc_lo
	v_add_co_u32 v24, vcc_lo, s22, v8
	v_add_co_ci_u32_e64 v25, null, s23, v9, vcc_lo
	global_load_dword v23, v[6:7], off
	global_load_dword v10, v[10:11], off
	;; [unrolled: 1-line block ×3, first 2 shown]
	v_add_co_u32 v8, vcc_lo, s8, v8
	v_add_co_ci_u32_e64 v9, null, s9, v9, vcc_lo
.LBB5_18:                               ;   Parent Loop BB5_17 Depth=1
                                        ; =>  This Inner Loop Header: Depth=2
	global_load_dword v24, v[8:9], off glc dlc
	s_waitcnt vmcnt(0)
	v_cmp_ne_u32_e32 vcc_lo, 0, v24
	s_or_b32 s1, vcc_lo, s1
	s_andn2_b32 exec_lo, exec_lo, s1
	s_cbranch_execnz .LBB5_18
; %bb.19:                               ;   in Loop: Header=BB5_17 Depth=1
	s_or_b32 exec_lo, exec_lo, s1
	v_cmp_eq_u32_e32 vcc_lo, -1, v11
	buffer_gl1_inv
	buffer_gl0_inv
	v_cndmask_b32_e32 v8, v11, v16, vcc_lo
	v_ashrrev_i32_e32 v9, 31, v8
	v_lshlrev_b64 v[24:25], 2, v[8:9]
	v_add_co_u32 v24, vcc_lo, s20, v24
	v_add_co_ci_u32_e64 v25, null, s21, v25, vcc_lo
	global_load_dword v24, v[24:25], off
	s_waitcnt vmcnt(0)
	v_cmp_neq_f32_e64 s1, 0, v24
	s_and_saveexec_b32 s7, s1
	s_cbranch_execz .LBB5_16
; %bb.20:                               ;   in Loop: Header=BB5_17 Depth=1
	v_add_nc_u32_e32 v9, v17, v10
	v_mov_b32_e32 v25, 0
	s_mov_b32 s10, exec_lo
	v_cmpx_lt_i32_e64 v9, v8
	s_cbranch_execz .LBB5_32
; %bb.21:                               ;   in Loop: Header=BB5_17 Depth=1
	v_mov_b32_e32 v25, 0
	s_mov_b32 s11, 0
	s_branch .LBB5_24
.LBB5_22:                               ;   in Loop: Header=BB5_24 Depth=2
	s_or_b32 exec_lo, exec_lo, s25
.LBB5_23:                               ;   in Loop: Header=BB5_24 Depth=2
	s_or_b32 exec_lo, exec_lo, s24
	v_add_nc_u32_e32 v9, 32, v9
	v_cmp_ge_i32_e32 vcc_lo, v9, v8
	s_or_b32 s11, vcc_lo, s11
	s_andn2_b32 exec_lo, exec_lo, s11
	s_cbranch_execz .LBB5_31
.LBB5_24:                               ;   Parent Loop BB5_17 Depth=1
                                        ; =>  This Loop Header: Depth=2
                                        ;       Child Loop BB5_27 Depth 3
	v_ashrrev_i32_e32 v10, 31, v9
	s_mov_b32 s24, exec_lo
	v_lshlrev_b64 v[10:11], 2, v[9:10]
	v_add_co_u32 v26, vcc_lo, s18, v10
	v_add_co_ci_u32_e64 v27, null, s19, v11, vcc_lo
	global_load_dword v26, v[26:27], off
	s_waitcnt vmcnt(0)
	v_mul_lo_u32 v27, 0x67, v26
	v_and_b32_e32 v29, 0x1ff, v27
	v_lshl_add_u32 v27, v29, 2, v13
	ds_read_b32 v28, v27
	s_waitcnt lgkmcnt(0)
	v_cmpx_ne_u32_e32 -1, v28
	s_cbranch_execz .LBB5_23
; %bb.25:                               ;   in Loop: Header=BB5_24 Depth=2
	s_mov_b32 s25, 0
                                        ; implicit-def: $sgpr26
                                        ; implicit-def: $sgpr28
                                        ; implicit-def: $sgpr27
	s_inst_prefetch 0x1
	s_branch .LBB5_27
	.p2align	6
.LBB5_26:                               ;   in Loop: Header=BB5_27 Depth=3
	s_or_b32 exec_lo, exec_lo, s29
	s_and_b32 s29, exec_lo, s28
	s_or_b32 s25, s29, s25
	s_andn2_b32 s26, s26, exec_lo
	s_and_b32 s29, s27, exec_lo
	s_or_b32 s26, s26, s29
	s_andn2_b32 exec_lo, exec_lo, s25
	s_cbranch_execz .LBB5_29
.LBB5_27:                               ;   Parent Loop BB5_17 Depth=1
                                        ;     Parent Loop BB5_24 Depth=2
                                        ; =>    This Inner Loop Header: Depth=3
	v_mov_b32_e32 v27, v29
	v_cmp_ne_u32_e32 vcc_lo, v28, v26
	s_or_b32 s27, s27, exec_lo
	s_or_b32 s28, s28, exec_lo
                                        ; implicit-def: $vgpr29
                                        ; implicit-def: $vgpr28
	s_and_saveexec_b32 s29, vcc_lo
	s_cbranch_execz .LBB5_26
; %bb.28:                               ;   in Loop: Header=BB5_27 Depth=3
	v_add_nc_u32_e32 v28, 1, v27
	s_andn2_b32 s28, s28, exec_lo
	s_andn2_b32 s27, s27, exec_lo
	v_and_b32_e32 v29, 0x1ff, v28
	v_lshl_add_u32 v28, v29, 2, v13
	ds_read_b32 v28, v28
	s_waitcnt lgkmcnt(0)
	v_cmp_eq_u32_e32 vcc_lo, -1, v28
	s_and_b32 s30, vcc_lo, exec_lo
	s_or_b32 s28, s28, s30
	s_branch .LBB5_26
.LBB5_29:                               ;   in Loop: Header=BB5_24 Depth=2
	s_inst_prefetch 0x2
	s_or_b32 exec_lo, exec_lo, s25
	s_and_saveexec_b32 s25, s26
	s_xor_b32 s25, exec_lo, s25
	s_cbranch_execz .LBB5_22
; %bb.30:                               ;   in Loop: Header=BB5_24 Depth=2
	v_lshl_add_u32 v26, v27, 2, v0
	v_add_co_u32 v10, vcc_lo, s20, v10
	v_add_co_ci_u32_e64 v11, null, s21, v11, vcc_lo
	ds_read_b32 v26, v26
	s_waitcnt lgkmcnt(0)
	v_ashrrev_i32_e32 v27, 31, v26
	v_lshlrev_b64 v[26:27], 2, v[26:27]
	v_add_co_u32 v26, vcc_lo, s20, v26
	v_add_co_ci_u32_e64 v27, null, s21, v27, vcc_lo
	s_clause 0x1
	global_load_dword v10, v[10:11], off
	global_load_dword v11, v[26:27], off
	s_waitcnt vmcnt(0)
	v_fmac_f32_e32 v25, v10, v11
	s_branch .LBB5_22
.LBB5_31:                               ;   in Loop: Header=BB5_17 Depth=1
	s_or_b32 exec_lo, exec_lo, s11
.LBB5_32:                               ;   in Loop: Header=BB5_17 Depth=1
	s_or_b32 exec_lo, exec_lo, s10
	v_cmp_gt_i32_e32 vcc_lo, 32, v18
	v_cndmask_b32_e32 v8, v15, v18, vcc_lo
	v_cmp_gt_i32_e32 vcc_lo, 32, v19
	v_lshlrev_b32_e32 v8, 2, v8
	v_cndmask_b32_e32 v9, v15, v19, vcc_lo
	v_cmp_gt_i32_e32 vcc_lo, 32, v20
	ds_bpermute_b32 v8, v8, v25
	v_lshlrev_b32_e32 v9, 2, v9
	v_cndmask_b32_e32 v10, v15, v20, vcc_lo
	v_cmp_gt_i32_e32 vcc_lo, 32, v21
	v_lshlrev_b32_e32 v10, 2, v10
	s_waitcnt lgkmcnt(0)
	v_add_f32_e32 v8, v25, v8
	ds_bpermute_b32 v9, v9, v8
	s_waitcnt lgkmcnt(0)
	v_add_f32_e32 v8, v8, v9
	ds_bpermute_b32 v9, v10, v8
	v_cndmask_b32_e32 v10, v15, v21, vcc_lo
	v_cmp_gt_i32_e32 vcc_lo, 32, v22
	v_lshlrev_b32_e32 v10, 2, v10
	s_waitcnt lgkmcnt(0)
	v_add_f32_e32 v8, v8, v9
	ds_bpermute_b32 v9, v10, v8
	v_cndmask_b32_e32 v10, v15, v22, vcc_lo
	s_waitcnt lgkmcnt(0)
	v_add_f32_e32 v8, v8, v9
	v_lshlrev_b32_e32 v9, 2, v10
	ds_bpermute_b32 v9, v9, v8
	s_and_saveexec_b32 s10, s0
	s_cbranch_execz .LBB5_15
; %bb.33:                               ;   in Loop: Header=BB5_17 Depth=1
	v_div_scale_f32 v10, null, v24, v24, 1.0
	v_div_scale_f32 v26, vcc_lo, 1.0, v24, 1.0
	s_waitcnt lgkmcnt(0)
	v_add_f32_e32 v8, v8, v9
	v_rcp_f32_e32 v11, v10
	v_sub_f32_e32 v8, v23, v8
	v_fma_f32 v25, -v10, v11, 1.0
	v_fmac_f32_e32 v11, v25, v11
	v_mul_f32_e32 v25, v26, v11
	v_fma_f32 v27, -v10, v25, v26
	v_fmac_f32_e32 v25, v27, v11
	v_fma_f32 v10, -v10, v25, v26
	v_div_fmas_f32 v10, v10, v11, v25
	v_div_fixup_f32 v9, v10, v24, 1.0
	v_mul_f32_e32 v8, v9, v8
	v_fmac_f32_e32 v14, v8, v8
	global_store_dword v[6:7], v8, off
	s_branch .LBB5_15
.LBB5_34:
	s_or_b32 exec_lo, exec_lo, s6
.LBB5_35:
	s_or_b32 exec_lo, exec_lo, s3
	v_cmp_eq_u32_e32 vcc_lo, 31, v12
	v_cmp_lt_i32_e64 s0, -1, v4
	s_and_b32 s0, vcc_lo, s0
	s_and_saveexec_b32 s3, s0
	s_cbranch_execz .LBB5_46
; %bb.36:
	v_mov_b32_e32 v5, 0
	v_lshlrev_b64 v[4:5], 2, v[4:5]
	v_add_co_u32 v4, s0, s20, v4
	v_add_co_ci_u32_e64 v5, null, s21, v5, s0
	s_load_dwordx2 s[0:1], s[4:5], 0x48
	global_load_dword v0, v[4:5], off
	s_waitcnt lgkmcnt(0)
	v_mul_f64 v[7:8], s[0:1], s[0:1]
	s_mov_b32 s1, exec_lo
	s_waitcnt vmcnt(0)
	v_sub_f32_e32 v6, v0, v14
	v_add_nc_u32_e32 v0, s2, v3
	v_cvt_f64_f32_e32 v[9:10], v6
	v_cmpx_ge_f64_e32 v[7:8], v[9:10]
	s_cbranch_execz .LBB5_41
; %bb.37:
	s_mov_b32 s0, exec_lo
	s_brev_b32 s2, -2
.LBB5_38:                               ; =>This Inner Loop Header: Depth=1
	s_ff1_i32_b32 s4, s0
	v_readlane_b32 s5, v0, s4
	s_lshl_b32 s4, 1, s4
	s_andn2_b32 s0, s0, s4
	s_min_i32 s2, s2, s5
	s_cmp_lg_u32 s0, 0
	s_cbranch_scc1 .LBB5_38
; %bb.39:
	v_mbcnt_lo_u32_b32 v3, exec_lo, 0
	s_mov_b32 s4, exec_lo
	v_cmpx_eq_u32_e32 0, v3
	s_xor_b32 s4, exec_lo, s4
	s_cbranch_execz .LBB5_41
; %bb.40:
	v_mov_b32_e32 v3, 0
	v_mov_b32_e32 v7, s2
	global_atomic_smin v3, v7, s[14:15]
.LBB5_41:
	s_or_b32 exec_lo, exec_lo, s1
	v_cmp_gt_f32_e64 s0, 0, v6
	v_cndmask_b32_e64 v3, v6, -v6, s0
	v_mul_f32_e32 v7, 0x4f800000, v3
	v_cmp_gt_f32_e64 s0, 0xf800000, v3
	v_cndmask_b32_e64 v3, v3, v7, s0
	v_sqrt_f32_e32 v7, v3
	v_add_nc_u32_e32 v8, -1, v7
	v_add_nc_u32_e32 v9, 1, v7
	v_fma_f32 v10, -v8, v7, v3
	v_fma_f32 v11, -v9, v7, v3
	v_cmp_ge_f32_e64 s1, 0, v10
	v_cndmask_b32_e64 v7, v7, v8, s1
	v_cmp_lt_f32_e64 s1, 0, v11
	v_cndmask_b32_e64 v7, v7, v9, s1
	v_mul_f32_e32 v8, 0x37800000, v7
	v_cndmask_b32_e64 v7, v7, v8, s0
	v_cmp_class_f32_e64 s0, v3, 0x260
	v_cndmask_b32_e64 v3, v7, v3, s0
	v_cmp_eq_f32_e64 s0, 0, v6
	global_store_dword v[4:5], v3, off
	s_and_b32 exec_lo, exec_lo, s0
	s_cbranch_execz .LBB5_46
; %bb.42:
	s_mov_b32 s0, exec_lo
	s_brev_b32 s1, -2
.LBB5_43:                               ; =>This Inner Loop Header: Depth=1
	s_ff1_i32_b32 s2, s0
	v_readlane_b32 s4, v0, s2
	s_lshl_b32 s2, 1, s2
	s_andn2_b32 s0, s0, s2
	s_min_i32 s1, s1, s4
	s_cmp_lg_u32 s0, 0
	s_cbranch_scc1 .LBB5_43
; %bb.44:
	v_mbcnt_lo_u32_b32 v0, exec_lo, 0
	s_mov_b32 s2, exec_lo
	v_cmpx_eq_u32_e32 0, v0
	s_xor_b32 s2, exec_lo, s2
	s_cbranch_execz .LBB5_46
; %bb.45:
	v_mov_b32_e32 v0, 0
	v_mov_b32_e32 v3, s1
	global_atomic_smin v0, v3, s[12:13]
.LBB5_46:
	s_or_b32 exec_lo, exec_lo, s3
	s_and_b32 exec_lo, exec_lo, vcc_lo
	s_cbranch_execz .LBB5_48
; %bb.47:
	v_add_co_u32 v0, vcc_lo, s8, v1
	v_add_co_ci_u32_e64 v1, null, s9, v2, vcc_lo
	v_mov_b32_e32 v2, 1
	s_waitcnt lgkmcnt(0)
	s_waitcnt_vscnt null, 0x0
	global_store_dword v[0:1], v2, off
.LBB5_48:
	s_endpgm
	.section	.rodata,"a",@progbits
	.p2align	6, 0x0
	.amdhsa_kernel _ZN9rocsparseL18csric0_hash_kernelILj256ELj32ELj16EfEEviPKiS2_PT2_S2_PiS2_S5_S5_d21rocsparse_index_base_
		.amdhsa_group_segment_fixed_size 32768
		.amdhsa_private_segment_fixed_size 0
		.amdhsa_kernarg_size 84
		.amdhsa_user_sgpr_count 6
		.amdhsa_user_sgpr_private_segment_buffer 1
		.amdhsa_user_sgpr_dispatch_ptr 0
		.amdhsa_user_sgpr_queue_ptr 0
		.amdhsa_user_sgpr_kernarg_segment_ptr 1
		.amdhsa_user_sgpr_dispatch_id 0
		.amdhsa_user_sgpr_flat_scratch_init 0
		.amdhsa_user_sgpr_private_segment_size 0
		.amdhsa_wavefront_size32 1
		.amdhsa_uses_dynamic_stack 0
		.amdhsa_system_sgpr_private_segment_wavefront_offset 0
		.amdhsa_system_sgpr_workgroup_id_x 1
		.amdhsa_system_sgpr_workgroup_id_y 0
		.amdhsa_system_sgpr_workgroup_id_z 0
		.amdhsa_system_sgpr_workgroup_info 0
		.amdhsa_system_vgpr_workitem_id 0
		.amdhsa_next_free_vgpr 113
		.amdhsa_next_free_sgpr 31
		.amdhsa_reserve_vcc 1
		.amdhsa_reserve_flat_scratch 0
		.amdhsa_float_round_mode_32 0
		.amdhsa_float_round_mode_16_64 0
		.amdhsa_float_denorm_mode_32 3
		.amdhsa_float_denorm_mode_16_64 3
		.amdhsa_dx10_clamp 1
		.amdhsa_ieee_mode 1
		.amdhsa_fp16_overflow 0
		.amdhsa_workgroup_processor_mode 1
		.amdhsa_memory_ordered 1
		.amdhsa_forward_progress 1
		.amdhsa_shared_vgpr_count 0
		.amdhsa_exception_fp_ieee_invalid_op 0
		.amdhsa_exception_fp_denorm_src 0
		.amdhsa_exception_fp_ieee_div_zero 0
		.amdhsa_exception_fp_ieee_overflow 0
		.amdhsa_exception_fp_ieee_underflow 0
		.amdhsa_exception_fp_ieee_inexact 0
		.amdhsa_exception_int_div_zero 0
	.end_amdhsa_kernel
	.section	.text._ZN9rocsparseL18csric0_hash_kernelILj256ELj32ELj16EfEEviPKiS2_PT2_S2_PiS2_S5_S5_d21rocsparse_index_base_,"axG",@progbits,_ZN9rocsparseL18csric0_hash_kernelILj256ELj32ELj16EfEEviPKiS2_PT2_S2_PiS2_S5_S5_d21rocsparse_index_base_,comdat
.Lfunc_end5:
	.size	_ZN9rocsparseL18csric0_hash_kernelILj256ELj32ELj16EfEEviPKiS2_PT2_S2_PiS2_S5_S5_d21rocsparse_index_base_, .Lfunc_end5-_ZN9rocsparseL18csric0_hash_kernelILj256ELj32ELj16EfEEviPKiS2_PT2_S2_PiS2_S5_S5_d21rocsparse_index_base_
                                        ; -- End function
	.set _ZN9rocsparseL18csric0_hash_kernelILj256ELj32ELj16EfEEviPKiS2_PT2_S2_PiS2_S5_S5_d21rocsparse_index_base_.num_vgpr, 30
	.set _ZN9rocsparseL18csric0_hash_kernelILj256ELj32ELj16EfEEviPKiS2_PT2_S2_PiS2_S5_S5_d21rocsparse_index_base_.num_agpr, 0
	.set _ZN9rocsparseL18csric0_hash_kernelILj256ELj32ELj16EfEEviPKiS2_PT2_S2_PiS2_S5_S5_d21rocsparse_index_base_.numbered_sgpr, 31
	.set _ZN9rocsparseL18csric0_hash_kernelILj256ELj32ELj16EfEEviPKiS2_PT2_S2_PiS2_S5_S5_d21rocsparse_index_base_.num_named_barrier, 0
	.set _ZN9rocsparseL18csric0_hash_kernelILj256ELj32ELj16EfEEviPKiS2_PT2_S2_PiS2_S5_S5_d21rocsparse_index_base_.private_seg_size, 0
	.set _ZN9rocsparseL18csric0_hash_kernelILj256ELj32ELj16EfEEviPKiS2_PT2_S2_PiS2_S5_S5_d21rocsparse_index_base_.uses_vcc, 1
	.set _ZN9rocsparseL18csric0_hash_kernelILj256ELj32ELj16EfEEviPKiS2_PT2_S2_PiS2_S5_S5_d21rocsparse_index_base_.uses_flat_scratch, 0
	.set _ZN9rocsparseL18csric0_hash_kernelILj256ELj32ELj16EfEEviPKiS2_PT2_S2_PiS2_S5_S5_d21rocsparse_index_base_.has_dyn_sized_stack, 0
	.set _ZN9rocsparseL18csric0_hash_kernelILj256ELj32ELj16EfEEviPKiS2_PT2_S2_PiS2_S5_S5_d21rocsparse_index_base_.has_recursion, 0
	.set _ZN9rocsparseL18csric0_hash_kernelILj256ELj32ELj16EfEEviPKiS2_PT2_S2_PiS2_S5_S5_d21rocsparse_index_base_.has_indirect_call, 0
	.section	.AMDGPU.csdata,"",@progbits
; Kernel info:
; codeLenInByte = 2192
; TotalNumSgprs: 33
; NumVgprs: 30
; ScratchSize: 0
; MemoryBound: 0
; FloatMode: 240
; IeeeMode: 1
; LDSByteSize: 32768 bytes/workgroup (compile time only)
; SGPRBlocks: 0
; VGPRBlocks: 14
; NumSGPRsForWavesPerEU: 33
; NumVGPRsForWavesPerEU: 113
; Occupancy: 8
; WaveLimiterHint : 1
; COMPUTE_PGM_RSRC2:SCRATCH_EN: 0
; COMPUTE_PGM_RSRC2:USER_SGPR: 6
; COMPUTE_PGM_RSRC2:TRAP_HANDLER: 0
; COMPUTE_PGM_RSRC2:TGID_X_EN: 1
; COMPUTE_PGM_RSRC2:TGID_Y_EN: 0
; COMPUTE_PGM_RSRC2:TGID_Z_EN: 0
; COMPUTE_PGM_RSRC2:TIDIG_COMP_CNT: 0
	.section	.text._ZN9rocsparseL23csric0_binsearch_kernelILj256ELj32ELb0EfEEviPKiS2_PT2_S2_PiS2_S5_S5_d21rocsparse_index_base_,"axG",@progbits,_ZN9rocsparseL23csric0_binsearch_kernelILj256ELj32ELb0EfEEviPKiS2_PT2_S2_PiS2_S5_S5_d21rocsparse_index_base_,comdat
	.globl	_ZN9rocsparseL23csric0_binsearch_kernelILj256ELj32ELb0EfEEviPKiS2_PT2_S2_PiS2_S5_S5_d21rocsparse_index_base_ ; -- Begin function _ZN9rocsparseL23csric0_binsearch_kernelILj256ELj32ELb0EfEEviPKiS2_PT2_S2_PiS2_S5_S5_d21rocsparse_index_base_
	.p2align	8
	.type	_ZN9rocsparseL23csric0_binsearch_kernelILj256ELj32ELb0EfEEviPKiS2_PT2_S2_PiS2_S5_S5_d21rocsparse_index_base_,@function
_ZN9rocsparseL23csric0_binsearch_kernelILj256ELj32ELb0EfEEviPKiS2_PT2_S2_PiS2_S5_S5_d21rocsparse_index_base_: ; @_ZN9rocsparseL23csric0_binsearch_kernelILj256ELj32ELb0EfEEviPKiS2_PT2_S2_PiS2_S5_S5_d21rocsparse_index_base_
; %bb.0:
	s_load_dword s0, s[4:5], 0x0
	v_lshrrev_b32_e32 v1, 5, v0
	s_lshl_b32 s1, s6, 3
	v_and_or_b32 v1, 0x7fffff8, s1, v1
	s_waitcnt lgkmcnt(0)
	v_cmp_gt_i32_e32 vcc_lo, s0, v1
	s_and_saveexec_b32 s0, vcc_lo
	s_cbranch_execz .LBB6_47
; %bb.1:
	s_load_dwordx8 s[8:15], s[4:5], 0x18
	v_lshlrev_b32_e32 v1, 2, v1
	v_and_b32_e32 v14, 31, v0
	v_mov_b32_e32 v0, 0
	s_mov_b32 s20, exec_lo
	s_waitcnt lgkmcnt(0)
	global_load_dword v3, v1, s[14:15]
	s_load_dwordx2 s[14:15], s[4:5], 0x8
	s_waitcnt vmcnt(0)
	v_ashrrev_i32_e32 v4, 31, v3
	v_lshlrev_b64 v[1:2], 2, v[3:4]
	s_waitcnt lgkmcnt(0)
	v_add_co_u32 v5, vcc_lo, s14, v1
	v_add_co_ci_u32_e64 v6, null, s15, v2, vcc_lo
	v_add_co_u32 v7, vcc_lo, s10, v1
	v_add_co_ci_u32_e64 v8, null, s11, v2, vcc_lo
	global_load_dword v9, v[5:6], off
	global_load_dword v4, v[7:8], off
	s_clause 0x2
	s_load_dword s3, s[4:5], 0x50
	s_load_dwordx4 s[16:19], s[4:5], 0x38
	s_load_dwordx2 s[6:7], s[4:5], 0x48
	s_waitcnt vmcnt(1) lgkmcnt(0)
	v_subrev_nc_u32_e32 v15, s3, v9
	s_waitcnt vmcnt(0)
	v_cmpx_lt_i32_e64 v15, v4
	s_cbranch_execz .LBB6_34
; %bb.2:
	global_load_dword v5, v[5:6], off offset:4
	s_load_dwordx2 s[4:5], s[4:5], 0x10
	v_add_nc_u32_e32 v16, -1, v4
	v_cmp_eq_u32_e64 s0, 0, v14
	v_subrev_nc_u32_e32 v17, s3, v14
	v_cmp_eq_u32_e64 s1, 31, v14
	v_mov_b32_e32 v18, 0
	v_mbcnt_lo_u32_b32 v19, -1, 0
	v_mov_b32_e32 v0, 0
	s_mov_b32 s21, 0
	s_waitcnt vmcnt(0)
	v_xad_u32 v20, s3, -1, v5
	v_mov_b32_e32 v5, v15
	s_branch .LBB6_5
.LBB6_3:                                ;   in Loop: Header=BB6_5 Depth=1
	s_or_b32 exec_lo, exec_lo, s23
.LBB6_4:                                ;   in Loop: Header=BB6_5 Depth=1
	s_or_b32 exec_lo, exec_lo, s22
	v_add_nc_u32_e32 v5, 1, v5
	s_xor_b32 s2, s2, -1
	v_cmp_ge_i32_e32 vcc_lo, v5, v4
	s_or_b32 s2, s2, vcc_lo
	s_and_b32 s2, exec_lo, s2
	s_or_b32 s21, s2, s21
	s_andn2_b32 exec_lo, exec_lo, s21
	s_cbranch_execz .LBB6_33
.LBB6_5:                                ; =>This Loop Header: Depth=1
                                        ;     Child Loop BB6_7 Depth 2
                                        ;     Child Loop BB6_11 Depth 2
	;; [unrolled: 1-line block ×4, first 2 shown]
                                        ;       Child Loop BB6_26 Depth 3
	v_ashrrev_i32_e32 v6, 31, v5
	s_mov_b32 s2, exec_lo
	v_lshlrev_b64 v[6:7], 2, v[5:6]
	s_waitcnt lgkmcnt(0)
	v_add_co_u32 v8, vcc_lo, s4, v6
	v_add_co_ci_u32_e64 v9, null, s5, v7, vcc_lo
	v_add_co_u32 v6, vcc_lo, s8, v6
	v_add_co_ci_u32_e64 v7, null, s9, v7, vcc_lo
	global_load_dword v10, v[8:9], off
	s_waitcnt vmcnt(0)
	v_subrev_nc_u32_e32 v8, s3, v10
	v_ashrrev_i32_e32 v9, 31, v8
	v_lshlrev_b64 v[8:9], 2, v[8:9]
	v_add_co_u32 v11, vcc_lo, s14, v8
	v_add_co_ci_u32_e64 v12, null, s15, v9, vcc_lo
	v_add_co_u32 v22, vcc_lo, s10, v8
	v_add_co_ci_u32_e64 v23, null, s11, v9, vcc_lo
	v_add_co_u32 v8, vcc_lo, s12, v8
	v_add_co_ci_u32_e64 v9, null, s13, v9, vcc_lo
	global_load_dword v21, v[6:7], off
	global_load_dword v11, v[11:12], off
	;; [unrolled: 1-line block ×3, first 2 shown]
	global_load_dword v13, v[8:9], off glc dlc
	s_waitcnt vmcnt(0)
	v_cmpx_eq_u32_e32 0, v13
	s_cbranch_execz .LBB6_8
; %bb.6:                                ;   in Loop: Header=BB6_5 Depth=1
	s_mov_b32 s22, 0
.LBB6_7:                                ;   Parent Loop BB6_5 Depth=1
                                        ; =>  This Inner Loop Header: Depth=2
	global_load_dword v13, v[8:9], off glc dlc
	s_waitcnt vmcnt(0)
	v_cmp_ne_u32_e32 vcc_lo, 0, v13
	s_or_b32 s22, vcc_lo, s22
	s_andn2_b32 exec_lo, exec_lo, s22
	s_cbranch_execnz .LBB6_7
.LBB6_8:                                ;   in Loop: Header=BB6_5 Depth=1
	s_or_b32 exec_lo, exec_lo, s2
	v_cmp_eq_u32_e32 vcc_lo, -1, v12
	buffer_gl1_inv
	buffer_gl0_inv
	s_mov_b32 s22, exec_lo
	v_cndmask_b32_e32 v8, v12, v16, vcc_lo
	v_ashrrev_i32_e32 v9, 31, v8
	v_lshlrev_b64 v[12:13], 2, v[8:9]
	v_add_co_u32 v12, vcc_lo, s8, v12
	v_add_co_ci_u32_e64 v13, null, s9, v13, vcc_lo
	global_load_dword v22, v[12:13], off
	s_waitcnt vmcnt(0)
	v_cmp_neq_f32_e64 s2, 0, v22
	v_cmpx_eq_f32_e32 0, v22
	s_xor_b32 s22, exec_lo, s22
	s_cbranch_execz .LBB6_15
; %bb.9:                                ;   in Loop: Header=BB6_5 Depth=1
	s_and_saveexec_b32 s23, s0
	s_cbranch_execz .LBB6_14
; %bb.10:                               ;   in Loop: Header=BB6_5 Depth=1
	s_mov_b32 s25, exec_lo
	s_brev_b32 s24, -2
.LBB6_11:                               ;   Parent Loop BB6_5 Depth=1
                                        ; =>  This Inner Loop Header: Depth=2
	s_ff1_i32_b32 s26, s25
	v_readlane_b32 s27, v10, s26
	s_lshl_b32 s26, 1, s26
	s_andn2_b32 s25, s25, s26
	s_min_i32 s24, s24, s27
	s_cmp_lg_u32 s25, 0
	s_cbranch_scc1 .LBB6_11
; %bb.12:                               ;   in Loop: Header=BB6_5 Depth=1
	v_mbcnt_lo_u32_b32 v6, exec_lo, 0
	s_mov_b32 s25, exec_lo
	v_cmpx_eq_u32_e32 0, v6
	s_xor_b32 s25, exec_lo, s25
	s_cbranch_execz .LBB6_14
; %bb.13:                               ;   in Loop: Header=BB6_5 Depth=1
	v_mov_b32_e32 v6, s24
	global_atomic_smin v18, v6, s[16:17]
.LBB6_14:                               ;   in Loop: Header=BB6_5 Depth=1
	s_or_b32 exec_lo, exec_lo, s23
                                        ; implicit-def: $vgpr22
                                        ; implicit-def: $vgpr21
                                        ; implicit-def: $vgpr6_vgpr7
                                        ; implicit-def: $vgpr11
                                        ; implicit-def: $vgpr8
                                        ; implicit-def: $vgpr10
.LBB6_15:                               ;   in Loop: Header=BB6_5 Depth=1
	s_andn2_saveexec_b32 s22, s22
	s_cbranch_execz .LBB6_4
; %bb.16:                               ;   in Loop: Header=BB6_5 Depth=1
	v_cvt_f64_f32_e32 v[12:13], v22
	v_cmp_ge_f64_e32 vcc_lo, s[6:7], v[12:13]
	s_and_b32 s24, s0, vcc_lo
	s_and_saveexec_b32 s23, s24
	s_cbranch_execz .LBB6_21
; %bb.17:                               ;   in Loop: Header=BB6_5 Depth=1
	s_mov_b32 s25, exec_lo
	s_brev_b32 s24, -2
.LBB6_18:                               ;   Parent Loop BB6_5 Depth=1
                                        ; =>  This Inner Loop Header: Depth=2
	s_ff1_i32_b32 s26, s25
	v_readlane_b32 s27, v10, s26
	s_lshl_b32 s26, 1, s26
	s_andn2_b32 s25, s25, s26
	s_min_i32 s24, s24, s27
	s_cmp_lg_u32 s25, 0
	s_cbranch_scc1 .LBB6_18
; %bb.19:                               ;   in Loop: Header=BB6_5 Depth=1
	v_mbcnt_lo_u32_b32 v9, exec_lo, 0
	s_mov_b32 s25, exec_lo
	v_cmpx_eq_u32_e32 0, v9
	s_xor_b32 s25, exec_lo, s25
	s_cbranch_execz .LBB6_21
; %bb.20:                               ;   in Loop: Header=BB6_5 Depth=1
	v_mov_b32_e32 v9, s24
	global_atomic_smin v18, v9, s[18:19]
.LBB6_21:                               ;   in Loop: Header=BB6_5 Depth=1
	s_or_b32 exec_lo, exec_lo, s23
	v_add_nc_u32_e32 v9, v17, v11
	v_mov_b32_e32 v23, 0
	s_mov_b32 s23, exec_lo
	v_cmpx_lt_i32_e64 v9, v8
	s_cbranch_execz .LBB6_31
; %bb.22:                               ;   in Loop: Header=BB6_5 Depth=1
	v_mov_b32_e32 v23, 0
	v_mov_b32_e32 v24, v15
	s_mov_b32 s24, 0
	s_branch .LBB6_24
.LBB6_23:                               ;   in Loop: Header=BB6_24 Depth=2
	s_or_b32 exec_lo, exec_lo, s25
	v_add_nc_u32_e32 v9, 32, v9
	v_cmp_ge_i32_e32 vcc_lo, v9, v8
	s_or_b32 s24, vcc_lo, s24
	s_andn2_b32 exec_lo, exec_lo, s24
	s_cbranch_execz .LBB6_30
.LBB6_24:                               ;   Parent Loop BB6_5 Depth=1
                                        ; =>  This Loop Header: Depth=2
                                        ;       Child Loop BB6_26 Depth 3
	v_add_nc_u32_e32 v10, v24, v20
	s_mov_b32 s25, exec_lo
	v_ashrrev_i32_e32 v12, 1, v10
	v_ashrrev_i32_e32 v10, 31, v9
	;; [unrolled: 1-line block ×3, first 2 shown]
	v_lshlrev_b64 v[10:11], 2, v[9:10]
	v_lshlrev_b64 v[25:26], 2, v[12:13]
	v_add_co_u32 v27, vcc_lo, s4, v10
	v_add_co_ci_u32_e64 v28, null, s5, v11, vcc_lo
	v_add_co_u32 v29, vcc_lo, s4, v25
	v_add_co_ci_u32_e64 v30, null, s5, v26, vcc_lo
	s_clause 0x1
	global_load_dword v25, v[27:28], off
	global_load_dword v26, v[29:30], off
	v_cmpx_lt_i32_e64 v24, v20
	s_cbranch_execz .LBB6_28
; %bb.25:                               ;   in Loop: Header=BB6_24 Depth=2
	v_mov_b32_e32 v27, v20
	s_mov_b32 s26, 0
	.p2align	6
.LBB6_26:                               ;   Parent Loop BB6_5 Depth=1
                                        ;     Parent Loop BB6_24 Depth=2
                                        ; =>    This Inner Loop Header: Depth=3
	v_add_nc_u32_e32 v13, 1, v12
	s_waitcnt vmcnt(0)
	v_cmp_lt_i32_e32 vcc_lo, v26, v25
	v_cndmask_b32_e32 v24, v24, v13, vcc_lo
	v_cndmask_b32_e32 v27, v12, v27, vcc_lo
	v_add_nc_u32_e32 v12, v27, v24
	v_ashrrev_i32_e32 v12, 1, v12
	v_ashrrev_i32_e32 v13, 31, v12
	v_lshlrev_b64 v[28:29], 2, v[12:13]
	v_add_co_u32 v28, vcc_lo, s4, v28
	v_add_co_ci_u32_e64 v29, null, s5, v29, vcc_lo
	v_cmp_ge_i32_e32 vcc_lo, v24, v27
	global_load_dword v26, v[28:29], off
	s_or_b32 s26, vcc_lo, s26
	s_andn2_b32 exec_lo, exec_lo, s26
	s_cbranch_execnz .LBB6_26
; %bb.27:                               ;   in Loop: Header=BB6_24 Depth=2
	s_or_b32 exec_lo, exec_lo, s26
.LBB6_28:                               ;   in Loop: Header=BB6_24 Depth=2
	s_or_b32 exec_lo, exec_lo, s25
	s_mov_b32 s25, exec_lo
	s_waitcnt vmcnt(0)
	v_cmpx_eq_u32_e64 v26, v25
	s_cbranch_execz .LBB6_23
; %bb.29:                               ;   in Loop: Header=BB6_24 Depth=2
	v_lshlrev_b64 v[12:13], 2, v[12:13]
	v_add_co_u32 v10, vcc_lo, s8, v10
	v_add_co_ci_u32_e64 v11, null, s9, v11, vcc_lo
	v_add_co_u32 v12, vcc_lo, s8, v12
	v_add_co_ci_u32_e64 v13, null, s9, v13, vcc_lo
	s_clause 0x1
	global_load_dword v10, v[10:11], off
	global_load_dword v11, v[12:13], off
	s_waitcnt vmcnt(0)
	v_fmac_f32_e32 v23, v10, v11
	s_branch .LBB6_23
.LBB6_30:                               ;   in Loop: Header=BB6_5 Depth=1
	s_or_b32 exec_lo, exec_lo, s24
.LBB6_31:                               ;   in Loop: Header=BB6_5 Depth=1
	s_or_b32 exec_lo, exec_lo, s23
	v_xor_b32_e32 v8, 16, v19
	v_xor_b32_e32 v9, 8, v19
	;; [unrolled: 1-line block ×3, first 2 shown]
	v_cmp_gt_i32_e32 vcc_lo, 32, v8
	v_cndmask_b32_e32 v8, v19, v8, vcc_lo
	v_cmp_gt_i32_e32 vcc_lo, 32, v9
	v_lshlrev_b32_e32 v8, 2, v8
	v_cndmask_b32_e32 v9, v19, v9, vcc_lo
	v_cmp_gt_i32_e32 vcc_lo, 32, v10
	ds_bpermute_b32 v8, v8, v23
	v_lshlrev_b32_e32 v9, 2, v9
	v_cndmask_b32_e32 v10, v19, v10, vcc_lo
	v_lshlrev_b32_e32 v10, 2, v10
	s_waitcnt lgkmcnt(0)
	v_add_f32_e32 v8, v23, v8
	ds_bpermute_b32 v9, v9, v8
	s_waitcnt lgkmcnt(0)
	v_add_f32_e32 v8, v8, v9
	ds_bpermute_b32 v9, v10, v8
	v_xor_b32_e32 v10, 2, v19
	v_cmp_gt_i32_e32 vcc_lo, 32, v10
	v_cndmask_b32_e32 v10, v19, v10, vcc_lo
	v_lshlrev_b32_e32 v10, 2, v10
	s_waitcnt lgkmcnt(0)
	v_add_f32_e32 v8, v8, v9
	ds_bpermute_b32 v9, v10, v8
	v_xor_b32_e32 v10, 1, v19
	v_cmp_gt_i32_e32 vcc_lo, 32, v10
	v_cndmask_b32_e32 v10, v19, v10, vcc_lo
	s_waitcnt lgkmcnt(0)
	v_add_f32_e32 v8, v8, v9
	v_lshlrev_b32_e32 v9, 2, v10
	ds_bpermute_b32 v9, v9, v8
	s_and_saveexec_b32 s23, s1
	s_cbranch_execz .LBB6_3
; %bb.32:                               ;   in Loop: Header=BB6_5 Depth=1
	v_div_scale_f32 v10, null, v22, v22, 1.0
	v_div_scale_f32 v13, vcc_lo, 1.0, v22, 1.0
	s_waitcnt lgkmcnt(0)
	v_add_f32_e32 v8, v8, v9
	v_rcp_f32_e32 v11, v10
	v_sub_f32_e32 v8, v21, v8
	v_fma_f32 v12, -v10, v11, 1.0
	v_fmac_f32_e32 v11, v12, v11
	v_mul_f32_e32 v12, v13, v11
	v_fma_f32 v23, -v10, v12, v13
	v_fmac_f32_e32 v12, v23, v11
	v_fma_f32 v10, -v10, v12, v13
	v_div_fmas_f32 v10, v10, v11, v12
	v_div_fixup_f32 v9, v10, v22, 1.0
	v_mul_f32_e32 v8, v9, v8
	v_fmac_f32_e32 v0, v8, v8
	global_store_dword v[6:7], v8, off
	s_branch .LBB6_3
.LBB6_33:
	s_or_b32 exec_lo, exec_lo, s21
.LBB6_34:
	s_or_b32 exec_lo, exec_lo, s20
	v_cmp_eq_u32_e32 vcc_lo, 31, v14
	v_cmp_lt_i32_e64 s0, -1, v4
	s_and_b32 s0, vcc_lo, s0
	s_and_saveexec_b32 s2, s0
	s_cbranch_execz .LBB6_45
; %bb.35:
	v_mov_b32_e32 v5, 0
	v_mul_f64 v[7:8], s[6:7], s[6:7]
	s_mov_b32 s1, exec_lo
	v_lshlrev_b64 v[4:5], 2, v[4:5]
	v_add_co_u32 v4, s0, s8, v4
	v_add_co_ci_u32_e64 v5, null, s9, v5, s0
	global_load_dword v6, v[4:5], off
	s_waitcnt vmcnt(0)
	v_sub_f32_e32 v6, v6, v0
	v_add_nc_u32_e32 v0, s3, v3
	s_waitcnt lgkmcnt(0)
	v_cvt_f64_f32_e32 v[9:10], v6
	v_cmpx_ge_f64_e32 v[7:8], v[9:10]
	s_cbranch_execz .LBB6_40
; %bb.36:
	s_mov_b32 s0, exec_lo
	s_brev_b32 s3, -2
.LBB6_37:                               ; =>This Inner Loop Header: Depth=1
	s_ff1_i32_b32 s4, s0
	v_readlane_b32 s5, v0, s4
	s_lshl_b32 s4, 1, s4
	s_andn2_b32 s0, s0, s4
	s_min_i32 s3, s3, s5
	s_cmp_lg_u32 s0, 0
	s_cbranch_scc1 .LBB6_37
; %bb.38:
	v_mbcnt_lo_u32_b32 v3, exec_lo, 0
	s_mov_b32 s4, exec_lo
	v_cmpx_eq_u32_e32 0, v3
	s_xor_b32 s4, exec_lo, s4
	s_cbranch_execz .LBB6_40
; %bb.39:
	v_mov_b32_e32 v3, 0
	v_mov_b32_e32 v7, s3
	global_atomic_smin v3, v7, s[18:19]
.LBB6_40:
	s_or_b32 exec_lo, exec_lo, s1
	v_cmp_gt_f32_e64 s0, 0, v6
	v_cndmask_b32_e64 v3, v6, -v6, s0
	v_mul_f32_e32 v7, 0x4f800000, v3
	v_cmp_gt_f32_e64 s0, 0xf800000, v3
	v_cndmask_b32_e64 v3, v3, v7, s0
	v_sqrt_f32_e32 v7, v3
	v_add_nc_u32_e32 v8, -1, v7
	v_add_nc_u32_e32 v9, 1, v7
	v_fma_f32 v10, -v8, v7, v3
	v_fma_f32 v11, -v9, v7, v3
	v_cmp_ge_f32_e64 s1, 0, v10
	v_cndmask_b32_e64 v7, v7, v8, s1
	v_cmp_lt_f32_e64 s1, 0, v11
	v_cndmask_b32_e64 v7, v7, v9, s1
	v_mul_f32_e32 v8, 0x37800000, v7
	v_cndmask_b32_e64 v7, v7, v8, s0
	v_cmp_class_f32_e64 s0, v3, 0x260
	v_cndmask_b32_e64 v3, v7, v3, s0
	v_cmp_eq_f32_e64 s0, 0, v6
	global_store_dword v[4:5], v3, off
	s_and_b32 exec_lo, exec_lo, s0
	s_cbranch_execz .LBB6_45
; %bb.41:
	s_mov_b32 s0, exec_lo
	s_brev_b32 s1, -2
.LBB6_42:                               ; =>This Inner Loop Header: Depth=1
	s_ff1_i32_b32 s3, s0
	v_readlane_b32 s4, v0, s3
	s_lshl_b32 s3, 1, s3
	s_andn2_b32 s0, s0, s3
	s_min_i32 s1, s1, s4
	s_cmp_lg_u32 s0, 0
	s_cbranch_scc1 .LBB6_42
; %bb.43:
	v_mbcnt_lo_u32_b32 v0, exec_lo, 0
	s_mov_b32 s3, exec_lo
	v_cmpx_eq_u32_e32 0, v0
	s_xor_b32 s3, exec_lo, s3
	s_cbranch_execz .LBB6_45
; %bb.44:
	v_mov_b32_e32 v0, 0
	v_mov_b32_e32 v3, s1
	global_atomic_smin v0, v3, s[16:17]
.LBB6_45:
	s_or_b32 exec_lo, exec_lo, s2
	s_and_b32 exec_lo, exec_lo, vcc_lo
	s_cbranch_execz .LBB6_47
; %bb.46:
	v_add_co_u32 v0, vcc_lo, s12, v1
	v_add_co_ci_u32_e64 v1, null, s13, v2, vcc_lo
	v_mov_b32_e32 v2, 1
	s_waitcnt lgkmcnt(0)
	s_waitcnt_vscnt null, 0x0
	global_store_dword v[0:1], v2, off
.LBB6_47:
	s_endpgm
	.section	.rodata,"a",@progbits
	.p2align	6, 0x0
	.amdhsa_kernel _ZN9rocsparseL23csric0_binsearch_kernelILj256ELj32ELb0EfEEviPKiS2_PT2_S2_PiS2_S5_S5_d21rocsparse_index_base_
		.amdhsa_group_segment_fixed_size 0
		.amdhsa_private_segment_fixed_size 0
		.amdhsa_kernarg_size 84
		.amdhsa_user_sgpr_count 6
		.amdhsa_user_sgpr_private_segment_buffer 1
		.amdhsa_user_sgpr_dispatch_ptr 0
		.amdhsa_user_sgpr_queue_ptr 0
		.amdhsa_user_sgpr_kernarg_segment_ptr 1
		.amdhsa_user_sgpr_dispatch_id 0
		.amdhsa_user_sgpr_flat_scratch_init 0
		.amdhsa_user_sgpr_private_segment_size 0
		.amdhsa_wavefront_size32 1
		.amdhsa_uses_dynamic_stack 0
		.amdhsa_system_sgpr_private_segment_wavefront_offset 0
		.amdhsa_system_sgpr_workgroup_id_x 1
		.amdhsa_system_sgpr_workgroup_id_y 0
		.amdhsa_system_sgpr_workgroup_id_z 0
		.amdhsa_system_sgpr_workgroup_info 0
		.amdhsa_system_vgpr_workitem_id 0
		.amdhsa_next_free_vgpr 31
		.amdhsa_next_free_sgpr 28
		.amdhsa_reserve_vcc 1
		.amdhsa_reserve_flat_scratch 0
		.amdhsa_float_round_mode_32 0
		.amdhsa_float_round_mode_16_64 0
		.amdhsa_float_denorm_mode_32 3
		.amdhsa_float_denorm_mode_16_64 3
		.amdhsa_dx10_clamp 1
		.amdhsa_ieee_mode 1
		.amdhsa_fp16_overflow 0
		.amdhsa_workgroup_processor_mode 1
		.amdhsa_memory_ordered 1
		.amdhsa_forward_progress 1
		.amdhsa_shared_vgpr_count 0
		.amdhsa_exception_fp_ieee_invalid_op 0
		.amdhsa_exception_fp_denorm_src 0
		.amdhsa_exception_fp_ieee_div_zero 0
		.amdhsa_exception_fp_ieee_overflow 0
		.amdhsa_exception_fp_ieee_underflow 0
		.amdhsa_exception_fp_ieee_inexact 0
		.amdhsa_exception_int_div_zero 0
	.end_amdhsa_kernel
	.section	.text._ZN9rocsparseL23csric0_binsearch_kernelILj256ELj32ELb0EfEEviPKiS2_PT2_S2_PiS2_S5_S5_d21rocsparse_index_base_,"axG",@progbits,_ZN9rocsparseL23csric0_binsearch_kernelILj256ELj32ELb0EfEEviPKiS2_PT2_S2_PiS2_S5_S5_d21rocsparse_index_base_,comdat
.Lfunc_end6:
	.size	_ZN9rocsparseL23csric0_binsearch_kernelILj256ELj32ELb0EfEEviPKiS2_PT2_S2_PiS2_S5_S5_d21rocsparse_index_base_, .Lfunc_end6-_ZN9rocsparseL23csric0_binsearch_kernelILj256ELj32ELb0EfEEviPKiS2_PT2_S2_PiS2_S5_S5_d21rocsparse_index_base_
                                        ; -- End function
	.set _ZN9rocsparseL23csric0_binsearch_kernelILj256ELj32ELb0EfEEviPKiS2_PT2_S2_PiS2_S5_S5_d21rocsparse_index_base_.num_vgpr, 31
	.set _ZN9rocsparseL23csric0_binsearch_kernelILj256ELj32ELb0EfEEviPKiS2_PT2_S2_PiS2_S5_S5_d21rocsparse_index_base_.num_agpr, 0
	.set _ZN9rocsparseL23csric0_binsearch_kernelILj256ELj32ELb0EfEEviPKiS2_PT2_S2_PiS2_S5_S5_d21rocsparse_index_base_.numbered_sgpr, 28
	.set _ZN9rocsparseL23csric0_binsearch_kernelILj256ELj32ELb0EfEEviPKiS2_PT2_S2_PiS2_S5_S5_d21rocsparse_index_base_.num_named_barrier, 0
	.set _ZN9rocsparseL23csric0_binsearch_kernelILj256ELj32ELb0EfEEviPKiS2_PT2_S2_PiS2_S5_S5_d21rocsparse_index_base_.private_seg_size, 0
	.set _ZN9rocsparseL23csric0_binsearch_kernelILj256ELj32ELb0EfEEviPKiS2_PT2_S2_PiS2_S5_S5_d21rocsparse_index_base_.uses_vcc, 1
	.set _ZN9rocsparseL23csric0_binsearch_kernelILj256ELj32ELb0EfEEviPKiS2_PT2_S2_PiS2_S5_S5_d21rocsparse_index_base_.uses_flat_scratch, 0
	.set _ZN9rocsparseL23csric0_binsearch_kernelILj256ELj32ELb0EfEEviPKiS2_PT2_S2_PiS2_S5_S5_d21rocsparse_index_base_.has_dyn_sized_stack, 0
	.set _ZN9rocsparseL23csric0_binsearch_kernelILj256ELj32ELb0EfEEviPKiS2_PT2_S2_PiS2_S5_S5_d21rocsparse_index_base_.has_recursion, 0
	.set _ZN9rocsparseL23csric0_binsearch_kernelILj256ELj32ELb0EfEEviPKiS2_PT2_S2_PiS2_S5_S5_d21rocsparse_index_base_.has_indirect_call, 0
	.section	.AMDGPU.csdata,"",@progbits
; Kernel info:
; codeLenInByte = 1964
; TotalNumSgprs: 30
; NumVgprs: 31
; ScratchSize: 0
; MemoryBound: 0
; FloatMode: 240
; IeeeMode: 1
; LDSByteSize: 0 bytes/workgroup (compile time only)
; SGPRBlocks: 0
; VGPRBlocks: 3
; NumSGPRsForWavesPerEU: 30
; NumVGPRsForWavesPerEU: 31
; Occupancy: 16
; WaveLimiterHint : 1
; COMPUTE_PGM_RSRC2:SCRATCH_EN: 0
; COMPUTE_PGM_RSRC2:USER_SGPR: 6
; COMPUTE_PGM_RSRC2:TRAP_HANDLER: 0
; COMPUTE_PGM_RSRC2:TGID_X_EN: 1
; COMPUTE_PGM_RSRC2:TGID_Y_EN: 0
; COMPUTE_PGM_RSRC2:TGID_Z_EN: 0
; COMPUTE_PGM_RSRC2:TIDIG_COMP_CNT: 0
	.section	.text._ZN9rocsparseL18csric0_hash_kernelILj256ELj64ELj1EfEEviPKiS2_PT2_S2_PiS2_S5_S5_d21rocsparse_index_base_,"axG",@progbits,_ZN9rocsparseL18csric0_hash_kernelILj256ELj64ELj1EfEEviPKiS2_PT2_S2_PiS2_S5_S5_d21rocsparse_index_base_,comdat
	.globl	_ZN9rocsparseL18csric0_hash_kernelILj256ELj64ELj1EfEEviPKiS2_PT2_S2_PiS2_S5_S5_d21rocsparse_index_base_ ; -- Begin function _ZN9rocsparseL18csric0_hash_kernelILj256ELj64ELj1EfEEviPKiS2_PT2_S2_PiS2_S5_S5_d21rocsparse_index_base_
	.p2align	8
	.type	_ZN9rocsparseL18csric0_hash_kernelILj256ELj64ELj1EfEEviPKiS2_PT2_S2_PiS2_S5_S5_d21rocsparse_index_base_,@function
_ZN9rocsparseL18csric0_hash_kernelILj256ELj64ELj1EfEEviPKiS2_PT2_S2_PiS2_S5_S5_d21rocsparse_index_base_: ; @_ZN9rocsparseL18csric0_hash_kernelILj256ELj64ELj1EfEEviPKiS2_PT2_S2_PiS2_S5_S5_d21rocsparse_index_base_
; %bb.0:
	s_load_dword s0, s[4:5], 0x0
	v_and_b32_e32 v6, 0xc0, v0
	v_lshrrev_b32_e32 v1, 6, v0
	s_lshl_b32 s1, s6, 2
	v_and_b32_e32 v11, 63, v0
	v_mov_b32_e32 v2, -1
	v_lshl_or_b32 v12, v6, 2, 0x400
	v_and_or_b32 v0, 0x3fffffc, s1, v1
	v_lshl_or_b32 v1, v11, 2, v12
	ds_write_b32 v1, v2
	s_waitcnt lgkmcnt(0)
	buffer_gl0_inv
	v_cmp_gt_i32_e32 vcc_lo, s0, v0
	s_and_saveexec_b32 s0, vcc_lo
	s_cbranch_execz .LBB7_46
; %bb.1:
	s_load_dwordx8 s[8:15], s[4:5], 0x28
	v_lshlrev_b32_e32 v0, 2, v0
	s_clause 0x1
	s_load_dwordx8 s[16:23], s[4:5], 0x8
	s_load_dword s2, s[4:5], 0x50
	v_lshlrev_b32_e32 v13, 2, v6
	s_mov_b32 s0, exec_lo
	s_waitcnt lgkmcnt(0)
	global_load_dword v2, v0, s[10:11]
	s_waitcnt vmcnt(0)
	v_ashrrev_i32_e32 v3, 31, v2
	v_lshlrev_b64 v[0:1], 2, v[2:3]
	v_add_co_u32 v3, vcc_lo, s16, v0
	v_add_co_ci_u32_e64 v4, null, s17, v1, vcc_lo
	v_add_co_u32 v7, vcc_lo, s22, v0
	v_add_co_ci_u32_e64 v8, null, s23, v1, vcc_lo
	global_load_dwordx2 v[4:5], v[3:4], off
	global_load_dword v3, v[7:8], off
	s_waitcnt vmcnt(1)
	v_subrev_nc_u32_e32 v4, s2, v4
	v_subrev_nc_u32_e32 v7, s2, v5
	v_add_nc_u32_e32 v5, v4, v11
	v_cmpx_lt_i32_e64 v5, v7
	s_cbranch_execz .LBB7_11
; %bb.2:
	v_mov_b32_e32 v8, -1
	s_mov_b32 s1, 0
	s_branch .LBB7_4
.LBB7_3:                                ;   in Loop: Header=BB7_4 Depth=1
	s_or_b32 exec_lo, exec_lo, s3
	v_add_nc_u32_e32 v5, 64, v5
	v_cmp_ge_i32_e32 vcc_lo, v5, v7
	s_or_b32 s1, vcc_lo, s1
	s_andn2_b32 exec_lo, exec_lo, s1
	s_cbranch_execz .LBB7_11
.LBB7_4:                                ; =>This Loop Header: Depth=1
                                        ;     Child Loop BB7_7 Depth 2
	v_ashrrev_i32_e32 v6, 31, v5
	s_mov_b32 s3, exec_lo
	v_lshlrev_b64 v[9:10], 2, v[5:6]
	v_add_co_u32 v9, vcc_lo, s18, v9
	v_add_co_ci_u32_e64 v10, null, s19, v10, vcc_lo
	global_load_dword v6, v[9:10], off
	s_waitcnt vmcnt(0)
	v_mul_lo_u32 v9, v6, 39
	v_and_b32_e32 v9, 63, v9
	v_lshl_add_u32 v10, v9, 2, v12
	ds_read_b32 v14, v10
	s_waitcnt lgkmcnt(0)
	v_cmpx_ne_u32_e64 v14, v6
	s_cbranch_execz .LBB7_3
; %bb.5:                                ;   in Loop: Header=BB7_4 Depth=1
	s_mov_b32 s6, 0
                                        ; implicit-def: $sgpr7
                                        ; implicit-def: $sgpr11
                                        ; implicit-def: $sgpr10
	s_inst_prefetch 0x1
	s_branch .LBB7_7
	.p2align	6
.LBB7_6:                                ;   in Loop: Header=BB7_7 Depth=2
	s_or_b32 exec_lo, exec_lo, s24
	s_and_b32 s24, exec_lo, s11
	s_or_b32 s6, s24, s6
	s_andn2_b32 s7, s7, exec_lo
	s_and_b32 s24, s10, exec_lo
	s_or_b32 s7, s7, s24
	s_andn2_b32 exec_lo, exec_lo, s6
	s_cbranch_execz .LBB7_9
.LBB7_7:                                ;   Parent Loop BB7_4 Depth=1
                                        ; =>  This Inner Loop Header: Depth=2
	ds_cmpst_rtn_b32 v10, v10, v8, v6
	v_mov_b32_e32 v14, v9
	s_or_b32 s10, s10, exec_lo
	s_or_b32 s11, s11, exec_lo
                                        ; implicit-def: $vgpr9
	s_waitcnt lgkmcnt(0)
	v_cmp_ne_u32_e32 vcc_lo, -1, v10
                                        ; implicit-def: $vgpr10
	s_and_saveexec_b32 s24, vcc_lo
	s_cbranch_execz .LBB7_6
; %bb.8:                                ;   in Loop: Header=BB7_7 Depth=2
	v_add_nc_u32_e32 v9, 1, v14
	s_andn2_b32 s11, s11, exec_lo
	s_andn2_b32 s10, s10, exec_lo
	v_and_b32_e32 v9, 63, v9
	v_lshl_add_u32 v10, v9, 2, v12
	ds_read_b32 v15, v10
	s_waitcnt lgkmcnt(0)
	v_cmp_eq_u32_e32 vcc_lo, v15, v6
	s_and_b32 s25, vcc_lo, exec_lo
	s_or_b32 s11, s11, s25
	s_branch .LBB7_6
.LBB7_9:                                ;   in Loop: Header=BB7_4 Depth=1
	s_inst_prefetch 0x2
	s_or_b32 exec_lo, exec_lo, s6
	s_and_saveexec_b32 s6, s7
	s_xor_b32 s6, exec_lo, s6
	s_cbranch_execz .LBB7_3
; %bb.10:                               ;   in Loop: Header=BB7_4 Depth=1
	v_lshl_add_u32 v6, v14, 2, v13
	ds_write_b32 v6, v5
	s_branch .LBB7_3
.LBB7_11:
	s_or_b32 exec_lo, exec_lo, s0
	v_mov_b32_e32 v14, 0
	s_mov_b32 s3, exec_lo
	s_waitcnt vmcnt(0) lgkmcnt(0)
	buffer_gl0_inv
	v_cmpx_lt_i32_e64 v4, v3
	s_cbranch_execz .LBB7_33
; %bb.12:
	v_mbcnt_lo_u32_b32 v15, -1, 0
	v_add_nc_u32_e32 v16, -1, v3
	v_subrev_nc_u32_e32 v17, s2, v11
	v_cmp_eq_u32_e64 s0, 63, v11
	v_mov_b32_e32 v14, 0
	v_or_b32_e32 v18, 32, v15
	v_xor_b32_e32 v19, 16, v15
	s_mov_b32 s6, 0
	s_branch .LBB7_15
.LBB7_13:                               ;   in Loop: Header=BB7_15 Depth=1
	s_or_b32 exec_lo, exec_lo, s10
.LBB7_14:                               ;   in Loop: Header=BB7_15 Depth=1
	s_or_b32 exec_lo, exec_lo, s7
	v_add_nc_u32_e32 v4, 1, v4
	s_xor_b32 s1, s1, -1
	v_cmp_ge_i32_e32 vcc_lo, v4, v3
	s_or_b32 s1, s1, vcc_lo
	s_and_b32 s1, exec_lo, s1
	s_or_b32 s6, s1, s6
	s_andn2_b32 exec_lo, exec_lo, s6
	s_cbranch_execz .LBB7_32
.LBB7_15:                               ; =>This Loop Header: Depth=1
                                        ;     Child Loop BB7_16 Depth 2
                                        ;     Child Loop BB7_22 Depth 2
                                        ;       Child Loop BB7_25 Depth 3
	v_ashrrev_i32_e32 v5, 31, v4
	s_mov_b32 s1, 0
	v_lshlrev_b64 v[5:6], 2, v[4:5]
	v_add_co_u32 v7, vcc_lo, s18, v5
	s_waitcnt lgkmcnt(0)
	v_add_co_ci_u32_e64 v8, null, s19, v6, vcc_lo
	v_add_co_u32 v5, vcc_lo, s20, v5
	v_add_co_ci_u32_e64 v6, null, s21, v6, vcc_lo
	global_load_dword v7, v[7:8], off
	s_waitcnt vmcnt(0)
	v_subrev_nc_u32_e32 v7, s2, v7
	v_ashrrev_i32_e32 v8, 31, v7
	v_lshlrev_b64 v[7:8], 2, v[7:8]
	v_add_co_u32 v9, vcc_lo, s16, v7
	v_add_co_ci_u32_e64 v10, null, s17, v8, vcc_lo
	v_add_co_u32 v21, vcc_lo, s22, v7
	v_add_co_ci_u32_e64 v22, null, s23, v8, vcc_lo
	global_load_dword v20, v[5:6], off
	global_load_dword v9, v[9:10], off
	;; [unrolled: 1-line block ×3, first 2 shown]
	v_add_co_u32 v7, vcc_lo, s8, v7
	v_add_co_ci_u32_e64 v8, null, s9, v8, vcc_lo
.LBB7_16:                               ;   Parent Loop BB7_15 Depth=1
                                        ; =>  This Inner Loop Header: Depth=2
	global_load_dword v21, v[7:8], off glc dlc
	s_waitcnt vmcnt(0)
	v_cmp_ne_u32_e32 vcc_lo, 0, v21
	s_or_b32 s1, vcc_lo, s1
	s_andn2_b32 exec_lo, exec_lo, s1
	s_cbranch_execnz .LBB7_16
; %bb.17:                               ;   in Loop: Header=BB7_15 Depth=1
	s_or_b32 exec_lo, exec_lo, s1
	v_cmp_eq_u32_e32 vcc_lo, -1, v10
	buffer_gl1_inv
	buffer_gl0_inv
	v_cndmask_b32_e32 v7, v10, v16, vcc_lo
	v_ashrrev_i32_e32 v8, 31, v7
	v_lshlrev_b64 v[21:22], 2, v[7:8]
	v_add_co_u32 v21, vcc_lo, s20, v21
	v_add_co_ci_u32_e64 v22, null, s21, v22, vcc_lo
	global_load_dword v21, v[21:22], off
	s_waitcnt vmcnt(0)
	v_cmp_neq_f32_e64 s1, 0, v21
	s_and_saveexec_b32 s7, s1
	s_cbranch_execz .LBB7_14
; %bb.18:                               ;   in Loop: Header=BB7_15 Depth=1
	v_add_nc_u32_e32 v8, v17, v9
	v_mov_b32_e32 v22, 0
	s_mov_b32 s10, exec_lo
	v_cmpx_lt_i32_e64 v8, v7
	s_cbranch_execz .LBB7_30
; %bb.19:                               ;   in Loop: Header=BB7_15 Depth=1
	v_mov_b32_e32 v22, 0
	s_mov_b32 s11, 0
	s_branch .LBB7_22
.LBB7_20:                               ;   in Loop: Header=BB7_22 Depth=2
	s_or_b32 exec_lo, exec_lo, s25
.LBB7_21:                               ;   in Loop: Header=BB7_22 Depth=2
	s_or_b32 exec_lo, exec_lo, s24
	v_add_nc_u32_e32 v8, 64, v8
	v_cmp_ge_i32_e32 vcc_lo, v8, v7
	s_or_b32 s11, vcc_lo, s11
	s_andn2_b32 exec_lo, exec_lo, s11
	s_cbranch_execz .LBB7_29
.LBB7_22:                               ;   Parent Loop BB7_15 Depth=1
                                        ; =>  This Loop Header: Depth=2
                                        ;       Child Loop BB7_25 Depth 3
	v_ashrrev_i32_e32 v9, 31, v8
	s_mov_b32 s24, exec_lo
	v_lshlrev_b64 v[9:10], 2, v[8:9]
	v_add_co_u32 v23, vcc_lo, s18, v9
	v_add_co_ci_u32_e64 v24, null, s19, v10, vcc_lo
	global_load_dword v23, v[23:24], off
	s_waitcnt vmcnt(0)
	v_mul_lo_u32 v24, v23, 39
	v_and_b32_e32 v26, 63, v24
	v_lshl_add_u32 v24, v26, 2, v12
	ds_read_b32 v25, v24
	s_waitcnt lgkmcnt(0)
	v_cmpx_ne_u32_e32 -1, v25
	s_cbranch_execz .LBB7_21
; %bb.23:                               ;   in Loop: Header=BB7_22 Depth=2
	s_mov_b32 s25, 0
                                        ; implicit-def: $sgpr26
                                        ; implicit-def: $sgpr28
                                        ; implicit-def: $sgpr27
	s_inst_prefetch 0x1
	s_branch .LBB7_25
	.p2align	6
.LBB7_24:                               ;   in Loop: Header=BB7_25 Depth=3
	s_or_b32 exec_lo, exec_lo, s29
	s_and_b32 s29, exec_lo, s28
	s_or_b32 s25, s29, s25
	s_andn2_b32 s26, s26, exec_lo
	s_and_b32 s29, s27, exec_lo
	s_or_b32 s26, s26, s29
	s_andn2_b32 exec_lo, exec_lo, s25
	s_cbranch_execz .LBB7_27
.LBB7_25:                               ;   Parent Loop BB7_15 Depth=1
                                        ;     Parent Loop BB7_22 Depth=2
                                        ; =>    This Inner Loop Header: Depth=3
	v_mov_b32_e32 v24, v26
	v_cmp_ne_u32_e32 vcc_lo, v25, v23
	s_or_b32 s27, s27, exec_lo
	s_or_b32 s28, s28, exec_lo
                                        ; implicit-def: $vgpr26
                                        ; implicit-def: $vgpr25
	s_and_saveexec_b32 s29, vcc_lo
	s_cbranch_execz .LBB7_24
; %bb.26:                               ;   in Loop: Header=BB7_25 Depth=3
	v_add_nc_u32_e32 v25, 1, v24
	s_andn2_b32 s28, s28, exec_lo
	s_andn2_b32 s27, s27, exec_lo
	v_and_b32_e32 v26, 63, v25
	v_lshl_add_u32 v25, v26, 2, v12
	ds_read_b32 v25, v25
	s_waitcnt lgkmcnt(0)
	v_cmp_eq_u32_e32 vcc_lo, -1, v25
	s_and_b32 s30, vcc_lo, exec_lo
	s_or_b32 s28, s28, s30
	s_branch .LBB7_24
.LBB7_27:                               ;   in Loop: Header=BB7_22 Depth=2
	s_inst_prefetch 0x2
	s_or_b32 exec_lo, exec_lo, s25
	s_and_saveexec_b32 s25, s26
	s_xor_b32 s25, exec_lo, s25
	s_cbranch_execz .LBB7_20
; %bb.28:                               ;   in Loop: Header=BB7_22 Depth=2
	v_lshl_add_u32 v23, v24, 2, v13
	v_add_co_u32 v9, vcc_lo, s20, v9
	v_add_co_ci_u32_e64 v10, null, s21, v10, vcc_lo
	ds_read_b32 v23, v23
	s_waitcnt lgkmcnt(0)
	v_ashrrev_i32_e32 v24, 31, v23
	v_lshlrev_b64 v[23:24], 2, v[23:24]
	v_add_co_u32 v23, vcc_lo, s20, v23
	v_add_co_ci_u32_e64 v24, null, s21, v24, vcc_lo
	s_clause 0x1
	global_load_dword v9, v[9:10], off
	global_load_dword v10, v[23:24], off
	s_waitcnt vmcnt(0)
	v_fmac_f32_e32 v22, v9, v10
	s_branch .LBB7_20
.LBB7_29:                               ;   in Loop: Header=BB7_15 Depth=1
	s_or_b32 exec_lo, exec_lo, s11
.LBB7_30:                               ;   in Loop: Header=BB7_15 Depth=1
	s_or_b32 exec_lo, exec_lo, s10
	v_cmp_gt_i32_e32 vcc_lo, 32, v18
	v_xor_b32_e32 v9, 8, v15
	v_cndmask_b32_e32 v7, v15, v18, vcc_lo
	v_cmp_gt_i32_e32 vcc_lo, 32, v19
	v_lshlrev_b32_e32 v7, 2, v7
	v_cndmask_b32_e32 v8, v15, v19, vcc_lo
	v_cmp_gt_i32_e32 vcc_lo, 32, v9
	ds_bpermute_b32 v7, v7, v22
	v_lshlrev_b32_e32 v8, 2, v8
	v_cndmask_b32_e32 v9, v15, v9, vcc_lo
	v_lshlrev_b32_e32 v9, 2, v9
	s_waitcnt lgkmcnt(0)
	v_add_f32_e32 v7, v22, v7
	ds_bpermute_b32 v8, v8, v7
	s_waitcnt lgkmcnt(0)
	v_add_f32_e32 v7, v7, v8
	ds_bpermute_b32 v8, v9, v7
	v_xor_b32_e32 v9, 4, v15
	v_cmp_gt_i32_e32 vcc_lo, 32, v9
	v_cndmask_b32_e32 v9, v15, v9, vcc_lo
	v_lshlrev_b32_e32 v9, 2, v9
	s_waitcnt lgkmcnt(0)
	v_add_f32_e32 v7, v7, v8
	ds_bpermute_b32 v8, v9, v7
	v_xor_b32_e32 v9, 2, v15
	v_cmp_gt_i32_e32 vcc_lo, 32, v9
	v_cndmask_b32_e32 v9, v15, v9, vcc_lo
	v_lshlrev_b32_e32 v9, 2, v9
	s_waitcnt lgkmcnt(0)
	v_add_f32_e32 v7, v7, v8
	ds_bpermute_b32 v8, v9, v7
	v_xor_b32_e32 v9, 1, v15
	v_cmp_gt_i32_e32 vcc_lo, 32, v9
	v_cndmask_b32_e32 v9, v15, v9, vcc_lo
	s_waitcnt lgkmcnt(0)
	v_add_f32_e32 v7, v7, v8
	v_lshlrev_b32_e32 v8, 2, v9
	ds_bpermute_b32 v8, v8, v7
	s_and_saveexec_b32 s10, s0
	s_cbranch_execz .LBB7_13
; %bb.31:                               ;   in Loop: Header=BB7_15 Depth=1
	v_div_scale_f32 v9, null, v21, v21, 1.0
	v_div_scale_f32 v23, vcc_lo, 1.0, v21, 1.0
	s_waitcnt lgkmcnt(0)
	v_add_f32_e32 v7, v7, v8
	v_rcp_f32_e32 v10, v9
	v_sub_f32_e32 v7, v20, v7
	v_fma_f32 v22, -v9, v10, 1.0
	v_fmac_f32_e32 v10, v22, v10
	v_mul_f32_e32 v22, v23, v10
	v_fma_f32 v24, -v9, v22, v23
	v_fmac_f32_e32 v22, v24, v10
	v_fma_f32 v9, -v9, v22, v23
	v_div_fmas_f32 v9, v9, v10, v22
	v_div_fixup_f32 v8, v9, v21, 1.0
	v_mul_f32_e32 v7, v8, v7
	v_fmac_f32_e32 v14, v7, v7
	global_store_dword v[5:6], v7, off
	s_branch .LBB7_13
.LBB7_32:
	s_or_b32 exec_lo, exec_lo, s6
.LBB7_33:
	s_or_b32 exec_lo, exec_lo, s3
	v_cmp_eq_u32_e32 vcc_lo, 63, v11
	v_cmp_lt_i32_e64 s0, -1, v3
	s_and_b32 s0, vcc_lo, s0
	s_and_saveexec_b32 s3, s0
	s_cbranch_execz .LBB7_44
; %bb.34:
	v_mov_b32_e32 v4, 0
	v_add_nc_u32_e32 v2, s2, v2
	v_lshlrev_b64 v[3:4], 2, v[3:4]
	v_add_co_u32 v3, s0, s20, v3
	v_add_co_ci_u32_e64 v4, null, s21, v4, s0
	s_load_dwordx2 s[0:1], s[4:5], 0x48
	global_load_dword v5, v[3:4], off
	s_waitcnt lgkmcnt(0)
	v_mul_f64 v[6:7], s[0:1], s[0:1]
	s_mov_b32 s1, exec_lo
	s_waitcnt vmcnt(0)
	v_sub_f32_e32 v5, v5, v14
	v_cvt_f64_f32_e32 v[8:9], v5
	v_cmpx_ge_f64_e32 v[6:7], v[8:9]
	s_cbranch_execz .LBB7_39
; %bb.35:
	s_mov_b32 s0, exec_lo
	s_brev_b32 s2, -2
.LBB7_36:                               ; =>This Inner Loop Header: Depth=1
	s_ff1_i32_b32 s4, s0
	v_readlane_b32 s5, v2, s4
	s_lshl_b32 s4, 1, s4
	s_andn2_b32 s0, s0, s4
	s_min_i32 s2, s2, s5
	s_cmp_lg_u32 s0, 0
	s_cbranch_scc1 .LBB7_36
; %bb.37:
	v_mbcnt_lo_u32_b32 v6, exec_lo, 0
	s_mov_b32 s4, exec_lo
	v_cmpx_eq_u32_e32 0, v6
	s_xor_b32 s4, exec_lo, s4
	s_cbranch_execz .LBB7_39
; %bb.38:
	v_mov_b32_e32 v6, 0
	v_mov_b32_e32 v7, s2
	global_atomic_smin v6, v7, s[14:15]
.LBB7_39:
	s_or_b32 exec_lo, exec_lo, s1
	v_cmp_gt_f32_e64 s0, 0, v5
	v_cndmask_b32_e64 v6, v5, -v5, s0
	v_mul_f32_e32 v7, 0x4f800000, v6
	v_cmp_gt_f32_e64 s0, 0xf800000, v6
	v_cndmask_b32_e64 v6, v6, v7, s0
	v_sqrt_f32_e32 v7, v6
	v_add_nc_u32_e32 v8, -1, v7
	v_add_nc_u32_e32 v9, 1, v7
	v_fma_f32 v10, -v8, v7, v6
	v_fma_f32 v11, -v9, v7, v6
	v_cmp_ge_f32_e64 s1, 0, v10
	v_cndmask_b32_e64 v7, v7, v8, s1
	v_cmp_lt_f32_e64 s1, 0, v11
	v_cndmask_b32_e64 v7, v7, v9, s1
	v_mul_f32_e32 v8, 0x37800000, v7
	v_cndmask_b32_e64 v7, v7, v8, s0
	v_cmp_class_f32_e64 s0, v6, 0x260
	v_cndmask_b32_e64 v6, v7, v6, s0
	v_cmp_eq_f32_e64 s0, 0, v5
	global_store_dword v[3:4], v6, off
	s_and_b32 exec_lo, exec_lo, s0
	s_cbranch_execz .LBB7_44
; %bb.40:
	s_mov_b32 s0, exec_lo
	s_brev_b32 s1, -2
.LBB7_41:                               ; =>This Inner Loop Header: Depth=1
	s_ff1_i32_b32 s2, s0
	v_readlane_b32 s4, v2, s2
	s_lshl_b32 s2, 1, s2
	s_andn2_b32 s0, s0, s2
	s_min_i32 s1, s1, s4
	s_cmp_lg_u32 s0, 0
	s_cbranch_scc1 .LBB7_41
; %bb.42:
	v_mbcnt_lo_u32_b32 v2, exec_lo, 0
	s_mov_b32 s2, exec_lo
	v_cmpx_eq_u32_e32 0, v2
	s_xor_b32 s2, exec_lo, s2
	s_cbranch_execz .LBB7_44
; %bb.43:
	v_mov_b32_e32 v2, 0
	v_mov_b32_e32 v3, s1
	global_atomic_smin v2, v3, s[12:13]
.LBB7_44:
	s_or_b32 exec_lo, exec_lo, s3
	s_and_b32 exec_lo, exec_lo, vcc_lo
	s_cbranch_execz .LBB7_46
; %bb.45:
	v_add_co_u32 v0, vcc_lo, s8, v0
	v_add_co_ci_u32_e64 v1, null, s9, v1, vcc_lo
	v_mov_b32_e32 v2, 1
	s_waitcnt lgkmcnt(0)
	s_waitcnt_vscnt null, 0x0
	global_store_dword v[0:1], v2, off
.LBB7_46:
	s_endpgm
	.section	.rodata,"a",@progbits
	.p2align	6, 0x0
	.amdhsa_kernel _ZN9rocsparseL18csric0_hash_kernelILj256ELj64ELj1EfEEviPKiS2_PT2_S2_PiS2_S5_S5_d21rocsparse_index_base_
		.amdhsa_group_segment_fixed_size 2048
		.amdhsa_private_segment_fixed_size 0
		.amdhsa_kernarg_size 84
		.amdhsa_user_sgpr_count 6
		.amdhsa_user_sgpr_private_segment_buffer 1
		.amdhsa_user_sgpr_dispatch_ptr 0
		.amdhsa_user_sgpr_queue_ptr 0
		.amdhsa_user_sgpr_kernarg_segment_ptr 1
		.amdhsa_user_sgpr_dispatch_id 0
		.amdhsa_user_sgpr_flat_scratch_init 0
		.amdhsa_user_sgpr_private_segment_size 0
		.amdhsa_wavefront_size32 1
		.amdhsa_uses_dynamic_stack 0
		.amdhsa_system_sgpr_private_segment_wavefront_offset 0
		.amdhsa_system_sgpr_workgroup_id_x 1
		.amdhsa_system_sgpr_workgroup_id_y 0
		.amdhsa_system_sgpr_workgroup_id_z 0
		.amdhsa_system_sgpr_workgroup_info 0
		.amdhsa_system_vgpr_workitem_id 0
		.amdhsa_next_free_vgpr 27
		.amdhsa_next_free_sgpr 31
		.amdhsa_reserve_vcc 1
		.amdhsa_reserve_flat_scratch 0
		.amdhsa_float_round_mode_32 0
		.amdhsa_float_round_mode_16_64 0
		.amdhsa_float_denorm_mode_32 3
		.amdhsa_float_denorm_mode_16_64 3
		.amdhsa_dx10_clamp 1
		.amdhsa_ieee_mode 1
		.amdhsa_fp16_overflow 0
		.amdhsa_workgroup_processor_mode 1
		.amdhsa_memory_ordered 1
		.amdhsa_forward_progress 1
		.amdhsa_shared_vgpr_count 0
		.amdhsa_exception_fp_ieee_invalid_op 0
		.amdhsa_exception_fp_denorm_src 0
		.amdhsa_exception_fp_ieee_div_zero 0
		.amdhsa_exception_fp_ieee_overflow 0
		.amdhsa_exception_fp_ieee_underflow 0
		.amdhsa_exception_fp_ieee_inexact 0
		.amdhsa_exception_int_div_zero 0
	.end_amdhsa_kernel
	.section	.text._ZN9rocsparseL18csric0_hash_kernelILj256ELj64ELj1EfEEviPKiS2_PT2_S2_PiS2_S5_S5_d21rocsparse_index_base_,"axG",@progbits,_ZN9rocsparseL18csric0_hash_kernelILj256ELj64ELj1EfEEviPKiS2_PT2_S2_PiS2_S5_S5_d21rocsparse_index_base_,comdat
.Lfunc_end7:
	.size	_ZN9rocsparseL18csric0_hash_kernelILj256ELj64ELj1EfEEviPKiS2_PT2_S2_PiS2_S5_S5_d21rocsparse_index_base_, .Lfunc_end7-_ZN9rocsparseL18csric0_hash_kernelILj256ELj64ELj1EfEEviPKiS2_PT2_S2_PiS2_S5_S5_d21rocsparse_index_base_
                                        ; -- End function
	.set _ZN9rocsparseL18csric0_hash_kernelILj256ELj64ELj1EfEEviPKiS2_PT2_S2_PiS2_S5_S5_d21rocsparse_index_base_.num_vgpr, 27
	.set _ZN9rocsparseL18csric0_hash_kernelILj256ELj64ELj1EfEEviPKiS2_PT2_S2_PiS2_S5_S5_d21rocsparse_index_base_.num_agpr, 0
	.set _ZN9rocsparseL18csric0_hash_kernelILj256ELj64ELj1EfEEviPKiS2_PT2_S2_PiS2_S5_S5_d21rocsparse_index_base_.numbered_sgpr, 31
	.set _ZN9rocsparseL18csric0_hash_kernelILj256ELj64ELj1EfEEviPKiS2_PT2_S2_PiS2_S5_S5_d21rocsparse_index_base_.num_named_barrier, 0
	.set _ZN9rocsparseL18csric0_hash_kernelILj256ELj64ELj1EfEEviPKiS2_PT2_S2_PiS2_S5_S5_d21rocsparse_index_base_.private_seg_size, 0
	.set _ZN9rocsparseL18csric0_hash_kernelILj256ELj64ELj1EfEEviPKiS2_PT2_S2_PiS2_S5_S5_d21rocsparse_index_base_.uses_vcc, 1
	.set _ZN9rocsparseL18csric0_hash_kernelILj256ELj64ELj1EfEEviPKiS2_PT2_S2_PiS2_S5_S5_d21rocsparse_index_base_.uses_flat_scratch, 0
	.set _ZN9rocsparseL18csric0_hash_kernelILj256ELj64ELj1EfEEviPKiS2_PT2_S2_PiS2_S5_S5_d21rocsparse_index_base_.has_dyn_sized_stack, 0
	.set _ZN9rocsparseL18csric0_hash_kernelILj256ELj64ELj1EfEEviPKiS2_PT2_S2_PiS2_S5_S5_d21rocsparse_index_base_.has_recursion, 0
	.set _ZN9rocsparseL18csric0_hash_kernelILj256ELj64ELj1EfEEviPKiS2_PT2_S2_PiS2_S5_S5_d21rocsparse_index_base_.has_indirect_call, 0
	.section	.AMDGPU.csdata,"",@progbits
; Kernel info:
; codeLenInByte = 2104
; TotalNumSgprs: 33
; NumVgprs: 27
; ScratchSize: 0
; MemoryBound: 0
; FloatMode: 240
; IeeeMode: 1
; LDSByteSize: 2048 bytes/workgroup (compile time only)
; SGPRBlocks: 0
; VGPRBlocks: 3
; NumSGPRsForWavesPerEU: 33
; NumVGPRsForWavesPerEU: 27
; Occupancy: 16
; WaveLimiterHint : 1
; COMPUTE_PGM_RSRC2:SCRATCH_EN: 0
; COMPUTE_PGM_RSRC2:USER_SGPR: 6
; COMPUTE_PGM_RSRC2:TRAP_HANDLER: 0
; COMPUTE_PGM_RSRC2:TGID_X_EN: 1
; COMPUTE_PGM_RSRC2:TGID_Y_EN: 0
; COMPUTE_PGM_RSRC2:TGID_Z_EN: 0
; COMPUTE_PGM_RSRC2:TIDIG_COMP_CNT: 0
	.section	.text._ZN9rocsparseL18csric0_hash_kernelILj256ELj64ELj2EfEEviPKiS2_PT2_S2_PiS2_S5_S5_d21rocsparse_index_base_,"axG",@progbits,_ZN9rocsparseL18csric0_hash_kernelILj256ELj64ELj2EfEEviPKiS2_PT2_S2_PiS2_S5_S5_d21rocsparse_index_base_,comdat
	.globl	_ZN9rocsparseL18csric0_hash_kernelILj256ELj64ELj2EfEEviPKiS2_PT2_S2_PiS2_S5_S5_d21rocsparse_index_base_ ; -- Begin function _ZN9rocsparseL18csric0_hash_kernelILj256ELj64ELj2EfEEviPKiS2_PT2_S2_PiS2_S5_S5_d21rocsparse_index_base_
	.p2align	8
	.type	_ZN9rocsparseL18csric0_hash_kernelILj256ELj64ELj2EfEEviPKiS2_PT2_S2_PiS2_S5_S5_d21rocsparse_index_base_,@function
_ZN9rocsparseL18csric0_hash_kernelILj256ELj64ELj2EfEEviPKiS2_PT2_S2_PiS2_S5_S5_d21rocsparse_index_base_: ; @_ZN9rocsparseL18csric0_hash_kernelILj256ELj64ELj2EfEEviPKiS2_PT2_S2_PiS2_S5_S5_d21rocsparse_index_base_
; %bb.0:
	s_clause 0x1
	s_load_dwordx8 s[16:23], s[4:5], 0x8
	s_load_dwordx8 s[8:15], s[4:5], 0x28
	v_lshrrev_b32_e32 v1, 6, v0
	v_and_b32_e32 v12, 63, v0
	s_mov_b32 s0, 0
	v_lshlrev_b32_e32 v3, 9, v1
	v_lshlrev_b32_e32 v4, 2, v12
	v_or_b32_e32 v2, 0xffffffc0, v12
	v_or3_b32 v3, v3, v4, 0x800
	v_mov_b32_e32 v4, -1
.LBB8_1:                                ; =>This Inner Loop Header: Depth=1
	v_add_co_u32 v2, s1, v2, 64
	s_xor_b32 s1, s1, -1
	ds_write_b32 v3, v4
	v_add_nc_u32_e32 v3, 0x100, v3
	s_and_b32 s1, exec_lo, s1
	s_or_b32 s0, s1, s0
	s_andn2_b32 exec_lo, exec_lo, s0
	s_cbranch_execnz .LBB8_1
; %bb.2:
	s_or_b32 exec_lo, exec_lo, s0
	s_load_dword s0, s[4:5], 0x0
	s_lshl_b32 s1, s6, 2
	s_waitcnt lgkmcnt(0)
	buffer_gl0_inv
	v_and_or_b32 v1, 0x3fffffc, s1, v1
	v_cmp_gt_i32_e32 vcc_lo, s0, v1
	s_and_saveexec_b32 s0, vcc_lo
	s_cbranch_execz .LBB8_48
; %bb.3:
	v_lshlrev_b32_e32 v1, 2, v1
	s_load_dword s2, s[4:5], 0x50
	v_lshlrev_b32_e32 v0, 3, v0
	s_mov_b32 s0, exec_lo
	global_load_dword v3, v1, s[10:11]
	v_and_b32_e32 v0, 0x600, v0
	v_or_b32_e32 v13, 0x800, v0
	s_waitcnt vmcnt(0)
	v_ashrrev_i32_e32 v4, 31, v3
	v_lshlrev_b64 v[1:2], 2, v[3:4]
	v_add_co_u32 v4, vcc_lo, s16, v1
	v_add_co_ci_u32_e64 v5, null, s17, v2, vcc_lo
	v_add_co_u32 v7, vcc_lo, s22, v1
	v_add_co_ci_u32_e64 v8, null, s23, v2, vcc_lo
	global_load_dwordx2 v[5:6], v[4:5], off
	global_load_dword v4, v[7:8], off
	s_waitcnt vmcnt(1) lgkmcnt(0)
	v_subrev_nc_u32_e32 v5, s2, v5
	v_subrev_nc_u32_e32 v8, s2, v6
	v_add_nc_u32_e32 v6, v5, v12
	v_cmpx_lt_i32_e64 v6, v8
	s_cbranch_execz .LBB8_13
; %bb.4:
	v_mov_b32_e32 v9, -1
	s_mov_b32 s1, 0
	s_branch .LBB8_6
.LBB8_5:                                ;   in Loop: Header=BB8_6 Depth=1
	s_or_b32 exec_lo, exec_lo, s3
	v_add_nc_u32_e32 v6, 64, v6
	v_cmp_ge_i32_e32 vcc_lo, v6, v8
	s_or_b32 s1, vcc_lo, s1
	s_andn2_b32 exec_lo, exec_lo, s1
	s_cbranch_execz .LBB8_13
.LBB8_6:                                ; =>This Loop Header: Depth=1
                                        ;     Child Loop BB8_9 Depth 2
	v_ashrrev_i32_e32 v7, 31, v6
	s_mov_b32 s3, exec_lo
	v_lshlrev_b64 v[10:11], 2, v[6:7]
	v_add_co_u32 v10, vcc_lo, s18, v10
	v_add_co_ci_u32_e64 v11, null, s19, v11, vcc_lo
	global_load_dword v7, v[10:11], off
	s_waitcnt vmcnt(0)
	v_mul_lo_u32 v10, 0x67, v7
	v_and_b32_e32 v10, 0x7f, v10
	v_lshl_add_u32 v11, v10, 2, v13
	ds_read_b32 v14, v11
	s_waitcnt lgkmcnt(0)
	v_cmpx_ne_u32_e64 v14, v7
	s_cbranch_execz .LBB8_5
; %bb.7:                                ;   in Loop: Header=BB8_6 Depth=1
	s_mov_b32 s6, 0
                                        ; implicit-def: $sgpr7
                                        ; implicit-def: $sgpr11
                                        ; implicit-def: $sgpr10
	s_inst_prefetch 0x1
	s_branch .LBB8_9
	.p2align	6
.LBB8_8:                                ;   in Loop: Header=BB8_9 Depth=2
	s_or_b32 exec_lo, exec_lo, s24
	s_and_b32 s24, exec_lo, s11
	s_or_b32 s6, s24, s6
	s_andn2_b32 s7, s7, exec_lo
	s_and_b32 s24, s10, exec_lo
	s_or_b32 s7, s7, s24
	s_andn2_b32 exec_lo, exec_lo, s6
	s_cbranch_execz .LBB8_11
.LBB8_9:                                ;   Parent Loop BB8_6 Depth=1
                                        ; =>  This Inner Loop Header: Depth=2
	ds_cmpst_rtn_b32 v11, v11, v9, v7
	v_mov_b32_e32 v14, v10
	s_or_b32 s10, s10, exec_lo
	s_or_b32 s11, s11, exec_lo
                                        ; implicit-def: $vgpr10
	s_waitcnt lgkmcnt(0)
	v_cmp_ne_u32_e32 vcc_lo, -1, v11
                                        ; implicit-def: $vgpr11
	s_and_saveexec_b32 s24, vcc_lo
	s_cbranch_execz .LBB8_8
; %bb.10:                               ;   in Loop: Header=BB8_9 Depth=2
	v_add_nc_u32_e32 v10, 1, v14
	s_andn2_b32 s11, s11, exec_lo
	s_andn2_b32 s10, s10, exec_lo
	v_and_b32_e32 v10, 0x7f, v10
	v_lshl_add_u32 v11, v10, 2, v13
	ds_read_b32 v15, v11
	s_waitcnt lgkmcnt(0)
	v_cmp_eq_u32_e32 vcc_lo, v15, v7
	s_and_b32 s25, vcc_lo, exec_lo
	s_or_b32 s11, s11, s25
	s_branch .LBB8_8
.LBB8_11:                               ;   in Loop: Header=BB8_6 Depth=1
	s_inst_prefetch 0x2
	s_or_b32 exec_lo, exec_lo, s6
	s_and_saveexec_b32 s6, s7
	s_xor_b32 s6, exec_lo, s6
	s_cbranch_execz .LBB8_5
; %bb.12:                               ;   in Loop: Header=BB8_6 Depth=1
	v_lshl_add_u32 v7, v14, 2, v0
	ds_write_b32 v7, v6
	s_branch .LBB8_5
.LBB8_13:
	s_or_b32 exec_lo, exec_lo, s0
	v_mov_b32_e32 v14, 0
	s_mov_b32 s3, exec_lo
	s_waitcnt vmcnt(0) lgkmcnt(0)
	buffer_gl0_inv
	v_cmpx_lt_i32_e64 v5, v4
	s_cbranch_execz .LBB8_35
; %bb.14:
	v_mbcnt_lo_u32_b32 v15, -1, 0
	v_add_nc_u32_e32 v16, -1, v4
	v_subrev_nc_u32_e32 v17, s2, v12
	v_cmp_eq_u32_e64 s0, 63, v12
	v_mov_b32_e32 v14, 0
	v_or_b32_e32 v18, 32, v15
	v_xor_b32_e32 v19, 16, v15
	v_xor_b32_e32 v20, 8, v15
	;; [unrolled: 1-line block ×5, first 2 shown]
	s_mov_b32 s6, 0
	s_branch .LBB8_17
.LBB8_15:                               ;   in Loop: Header=BB8_17 Depth=1
	s_or_b32 exec_lo, exec_lo, s10
.LBB8_16:                               ;   in Loop: Header=BB8_17 Depth=1
	s_or_b32 exec_lo, exec_lo, s7
	v_add_nc_u32_e32 v5, 1, v5
	s_xor_b32 s1, s1, -1
	v_cmp_ge_i32_e32 vcc_lo, v5, v4
	s_or_b32 s1, s1, vcc_lo
	s_and_b32 s1, exec_lo, s1
	s_or_b32 s6, s1, s6
	s_andn2_b32 exec_lo, exec_lo, s6
	s_cbranch_execz .LBB8_34
.LBB8_17:                               ; =>This Loop Header: Depth=1
                                        ;     Child Loop BB8_18 Depth 2
                                        ;     Child Loop BB8_24 Depth 2
                                        ;       Child Loop BB8_27 Depth 3
	v_ashrrev_i32_e32 v6, 31, v5
	s_mov_b32 s1, 0
	v_lshlrev_b64 v[6:7], 2, v[5:6]
	v_add_co_u32 v8, vcc_lo, s18, v6
	s_waitcnt lgkmcnt(0)
	v_add_co_ci_u32_e64 v9, null, s19, v7, vcc_lo
	v_add_co_u32 v6, vcc_lo, s20, v6
	v_add_co_ci_u32_e64 v7, null, s21, v7, vcc_lo
	global_load_dword v8, v[8:9], off
	s_waitcnt vmcnt(0)
	v_subrev_nc_u32_e32 v8, s2, v8
	v_ashrrev_i32_e32 v9, 31, v8
	v_lshlrev_b64 v[8:9], 2, v[8:9]
	v_add_co_u32 v10, vcc_lo, s16, v8
	v_add_co_ci_u32_e64 v11, null, s17, v9, vcc_lo
	v_add_co_u32 v25, vcc_lo, s22, v8
	v_add_co_ci_u32_e64 v26, null, s23, v9, vcc_lo
	global_load_dword v24, v[6:7], off
	global_load_dword v10, v[10:11], off
	;; [unrolled: 1-line block ×3, first 2 shown]
	v_add_co_u32 v8, vcc_lo, s8, v8
	v_add_co_ci_u32_e64 v9, null, s9, v9, vcc_lo
.LBB8_18:                               ;   Parent Loop BB8_17 Depth=1
                                        ; =>  This Inner Loop Header: Depth=2
	global_load_dword v25, v[8:9], off glc dlc
	s_waitcnt vmcnt(0)
	v_cmp_ne_u32_e32 vcc_lo, 0, v25
	s_or_b32 s1, vcc_lo, s1
	s_andn2_b32 exec_lo, exec_lo, s1
	s_cbranch_execnz .LBB8_18
; %bb.19:                               ;   in Loop: Header=BB8_17 Depth=1
	s_or_b32 exec_lo, exec_lo, s1
	v_cmp_eq_u32_e32 vcc_lo, -1, v11
	buffer_gl1_inv
	buffer_gl0_inv
	v_cndmask_b32_e32 v8, v11, v16, vcc_lo
	v_ashrrev_i32_e32 v9, 31, v8
	v_lshlrev_b64 v[25:26], 2, v[8:9]
	v_add_co_u32 v25, vcc_lo, s20, v25
	v_add_co_ci_u32_e64 v26, null, s21, v26, vcc_lo
	global_load_dword v25, v[25:26], off
	s_waitcnt vmcnt(0)
	v_cmp_neq_f32_e64 s1, 0, v25
	s_and_saveexec_b32 s7, s1
	s_cbranch_execz .LBB8_16
; %bb.20:                               ;   in Loop: Header=BB8_17 Depth=1
	v_add_nc_u32_e32 v9, v17, v10
	v_mov_b32_e32 v26, 0
	s_mov_b32 s10, exec_lo
	v_cmpx_lt_i32_e64 v9, v8
	s_cbranch_execz .LBB8_32
; %bb.21:                               ;   in Loop: Header=BB8_17 Depth=1
	v_mov_b32_e32 v26, 0
	s_mov_b32 s11, 0
	s_branch .LBB8_24
.LBB8_22:                               ;   in Loop: Header=BB8_24 Depth=2
	s_or_b32 exec_lo, exec_lo, s25
.LBB8_23:                               ;   in Loop: Header=BB8_24 Depth=2
	s_or_b32 exec_lo, exec_lo, s24
	v_add_nc_u32_e32 v9, 64, v9
	v_cmp_ge_i32_e32 vcc_lo, v9, v8
	s_or_b32 s11, vcc_lo, s11
	s_andn2_b32 exec_lo, exec_lo, s11
	s_cbranch_execz .LBB8_31
.LBB8_24:                               ;   Parent Loop BB8_17 Depth=1
                                        ; =>  This Loop Header: Depth=2
                                        ;       Child Loop BB8_27 Depth 3
	v_ashrrev_i32_e32 v10, 31, v9
	s_mov_b32 s24, exec_lo
	v_lshlrev_b64 v[10:11], 2, v[9:10]
	v_add_co_u32 v27, vcc_lo, s18, v10
	v_add_co_ci_u32_e64 v28, null, s19, v11, vcc_lo
	global_load_dword v27, v[27:28], off
	s_waitcnt vmcnt(0)
	v_mul_lo_u32 v28, 0x67, v27
	v_and_b32_e32 v30, 0x7f, v28
	v_lshl_add_u32 v28, v30, 2, v13
	ds_read_b32 v29, v28
	s_waitcnt lgkmcnt(0)
	v_cmpx_ne_u32_e32 -1, v29
	s_cbranch_execz .LBB8_23
; %bb.25:                               ;   in Loop: Header=BB8_24 Depth=2
	s_mov_b32 s25, 0
                                        ; implicit-def: $sgpr26
                                        ; implicit-def: $sgpr28
                                        ; implicit-def: $sgpr27
	s_inst_prefetch 0x1
	s_branch .LBB8_27
	.p2align	6
.LBB8_26:                               ;   in Loop: Header=BB8_27 Depth=3
	s_or_b32 exec_lo, exec_lo, s29
	s_and_b32 s29, exec_lo, s28
	s_or_b32 s25, s29, s25
	s_andn2_b32 s26, s26, exec_lo
	s_and_b32 s29, s27, exec_lo
	s_or_b32 s26, s26, s29
	s_andn2_b32 exec_lo, exec_lo, s25
	s_cbranch_execz .LBB8_29
.LBB8_27:                               ;   Parent Loop BB8_17 Depth=1
                                        ;     Parent Loop BB8_24 Depth=2
                                        ; =>    This Inner Loop Header: Depth=3
	v_mov_b32_e32 v28, v30
	v_cmp_ne_u32_e32 vcc_lo, v29, v27
	s_or_b32 s27, s27, exec_lo
	s_or_b32 s28, s28, exec_lo
                                        ; implicit-def: $vgpr30
                                        ; implicit-def: $vgpr29
	s_and_saveexec_b32 s29, vcc_lo
	s_cbranch_execz .LBB8_26
; %bb.28:                               ;   in Loop: Header=BB8_27 Depth=3
	v_add_nc_u32_e32 v29, 1, v28
	s_andn2_b32 s28, s28, exec_lo
	s_andn2_b32 s27, s27, exec_lo
	v_and_b32_e32 v30, 0x7f, v29
	v_lshl_add_u32 v29, v30, 2, v13
	ds_read_b32 v29, v29
	s_waitcnt lgkmcnt(0)
	v_cmp_eq_u32_e32 vcc_lo, -1, v29
	s_and_b32 s30, vcc_lo, exec_lo
	s_or_b32 s28, s28, s30
	s_branch .LBB8_26
.LBB8_29:                               ;   in Loop: Header=BB8_24 Depth=2
	s_inst_prefetch 0x2
	s_or_b32 exec_lo, exec_lo, s25
	s_and_saveexec_b32 s25, s26
	s_xor_b32 s25, exec_lo, s25
	s_cbranch_execz .LBB8_22
; %bb.30:                               ;   in Loop: Header=BB8_24 Depth=2
	v_lshl_add_u32 v27, v28, 2, v0
	v_add_co_u32 v10, vcc_lo, s20, v10
	v_add_co_ci_u32_e64 v11, null, s21, v11, vcc_lo
	ds_read_b32 v27, v27
	s_waitcnt lgkmcnt(0)
	v_ashrrev_i32_e32 v28, 31, v27
	v_lshlrev_b64 v[27:28], 2, v[27:28]
	v_add_co_u32 v27, vcc_lo, s20, v27
	v_add_co_ci_u32_e64 v28, null, s21, v28, vcc_lo
	s_clause 0x1
	global_load_dword v10, v[10:11], off
	global_load_dword v11, v[27:28], off
	s_waitcnt vmcnt(0)
	v_fmac_f32_e32 v26, v10, v11
	s_branch .LBB8_22
.LBB8_31:                               ;   in Loop: Header=BB8_17 Depth=1
	s_or_b32 exec_lo, exec_lo, s11
.LBB8_32:                               ;   in Loop: Header=BB8_17 Depth=1
	s_or_b32 exec_lo, exec_lo, s10
	v_cmp_gt_i32_e32 vcc_lo, 32, v18
	v_cndmask_b32_e32 v8, v15, v18, vcc_lo
	v_cmp_gt_i32_e32 vcc_lo, 32, v19
	v_lshlrev_b32_e32 v8, 2, v8
	v_cndmask_b32_e32 v9, v15, v19, vcc_lo
	v_cmp_gt_i32_e32 vcc_lo, 32, v20
	ds_bpermute_b32 v8, v8, v26
	v_lshlrev_b32_e32 v9, 2, v9
	v_cndmask_b32_e32 v10, v15, v20, vcc_lo
	v_cmp_gt_i32_e32 vcc_lo, 32, v21
	v_lshlrev_b32_e32 v10, 2, v10
	s_waitcnt lgkmcnt(0)
	v_add_f32_e32 v8, v26, v8
	ds_bpermute_b32 v9, v9, v8
	s_waitcnt lgkmcnt(0)
	v_add_f32_e32 v8, v8, v9
	ds_bpermute_b32 v9, v10, v8
	v_cndmask_b32_e32 v10, v15, v21, vcc_lo
	v_cmp_gt_i32_e32 vcc_lo, 32, v22
	v_lshlrev_b32_e32 v10, 2, v10
	s_waitcnt lgkmcnt(0)
	v_add_f32_e32 v8, v8, v9
	ds_bpermute_b32 v9, v10, v8
	v_cndmask_b32_e32 v10, v15, v22, vcc_lo
	v_cmp_gt_i32_e32 vcc_lo, 32, v23
	v_lshlrev_b32_e32 v10, 2, v10
	s_waitcnt lgkmcnt(0)
	v_add_f32_e32 v8, v8, v9
	ds_bpermute_b32 v9, v10, v8
	v_cndmask_b32_e32 v10, v15, v23, vcc_lo
	s_waitcnt lgkmcnt(0)
	v_add_f32_e32 v8, v8, v9
	v_lshlrev_b32_e32 v9, 2, v10
	ds_bpermute_b32 v9, v9, v8
	s_and_saveexec_b32 s10, s0
	s_cbranch_execz .LBB8_15
; %bb.33:                               ;   in Loop: Header=BB8_17 Depth=1
	v_div_scale_f32 v10, null, v25, v25, 1.0
	v_div_scale_f32 v27, vcc_lo, 1.0, v25, 1.0
	s_waitcnt lgkmcnt(0)
	v_add_f32_e32 v8, v8, v9
	v_rcp_f32_e32 v11, v10
	v_sub_f32_e32 v8, v24, v8
	v_fma_f32 v26, -v10, v11, 1.0
	v_fmac_f32_e32 v11, v26, v11
	v_mul_f32_e32 v26, v27, v11
	v_fma_f32 v28, -v10, v26, v27
	v_fmac_f32_e32 v26, v28, v11
	v_fma_f32 v10, -v10, v26, v27
	v_div_fmas_f32 v10, v10, v11, v26
	v_div_fixup_f32 v9, v10, v25, 1.0
	v_mul_f32_e32 v8, v9, v8
	v_fmac_f32_e32 v14, v8, v8
	global_store_dword v[6:7], v8, off
	s_branch .LBB8_15
.LBB8_34:
	s_or_b32 exec_lo, exec_lo, s6
.LBB8_35:
	s_or_b32 exec_lo, exec_lo, s3
	v_cmp_eq_u32_e32 vcc_lo, 63, v12
	v_cmp_lt_i32_e64 s0, -1, v4
	s_and_b32 s0, vcc_lo, s0
	s_and_saveexec_b32 s3, s0
	s_cbranch_execz .LBB8_46
; %bb.36:
	v_mov_b32_e32 v5, 0
	v_lshlrev_b64 v[4:5], 2, v[4:5]
	v_add_co_u32 v4, s0, s20, v4
	v_add_co_ci_u32_e64 v5, null, s21, v5, s0
	s_load_dwordx2 s[0:1], s[4:5], 0x48
	global_load_dword v0, v[4:5], off
	s_waitcnt lgkmcnt(0)
	v_mul_f64 v[7:8], s[0:1], s[0:1]
	s_mov_b32 s1, exec_lo
	s_waitcnt vmcnt(0)
	v_sub_f32_e32 v6, v0, v14
	v_add_nc_u32_e32 v0, s2, v3
	v_cvt_f64_f32_e32 v[9:10], v6
	v_cmpx_ge_f64_e32 v[7:8], v[9:10]
	s_cbranch_execz .LBB8_41
; %bb.37:
	s_mov_b32 s0, exec_lo
	s_brev_b32 s2, -2
.LBB8_38:                               ; =>This Inner Loop Header: Depth=1
	s_ff1_i32_b32 s4, s0
	v_readlane_b32 s5, v0, s4
	s_lshl_b32 s4, 1, s4
	s_andn2_b32 s0, s0, s4
	s_min_i32 s2, s2, s5
	s_cmp_lg_u32 s0, 0
	s_cbranch_scc1 .LBB8_38
; %bb.39:
	v_mbcnt_lo_u32_b32 v3, exec_lo, 0
	s_mov_b32 s4, exec_lo
	v_cmpx_eq_u32_e32 0, v3
	s_xor_b32 s4, exec_lo, s4
	s_cbranch_execz .LBB8_41
; %bb.40:
	v_mov_b32_e32 v3, 0
	v_mov_b32_e32 v7, s2
	global_atomic_smin v3, v7, s[14:15]
.LBB8_41:
	s_or_b32 exec_lo, exec_lo, s1
	v_cmp_gt_f32_e64 s0, 0, v6
	v_cndmask_b32_e64 v3, v6, -v6, s0
	v_mul_f32_e32 v7, 0x4f800000, v3
	v_cmp_gt_f32_e64 s0, 0xf800000, v3
	v_cndmask_b32_e64 v3, v3, v7, s0
	v_sqrt_f32_e32 v7, v3
	v_add_nc_u32_e32 v8, -1, v7
	v_add_nc_u32_e32 v9, 1, v7
	v_fma_f32 v10, -v8, v7, v3
	v_fma_f32 v11, -v9, v7, v3
	v_cmp_ge_f32_e64 s1, 0, v10
	v_cndmask_b32_e64 v7, v7, v8, s1
	v_cmp_lt_f32_e64 s1, 0, v11
	v_cndmask_b32_e64 v7, v7, v9, s1
	v_mul_f32_e32 v8, 0x37800000, v7
	v_cndmask_b32_e64 v7, v7, v8, s0
	v_cmp_class_f32_e64 s0, v3, 0x260
	v_cndmask_b32_e64 v3, v7, v3, s0
	v_cmp_eq_f32_e64 s0, 0, v6
	global_store_dword v[4:5], v3, off
	s_and_b32 exec_lo, exec_lo, s0
	s_cbranch_execz .LBB8_46
; %bb.42:
	s_mov_b32 s0, exec_lo
	s_brev_b32 s1, -2
.LBB8_43:                               ; =>This Inner Loop Header: Depth=1
	s_ff1_i32_b32 s2, s0
	v_readlane_b32 s4, v0, s2
	s_lshl_b32 s2, 1, s2
	s_andn2_b32 s0, s0, s2
	s_min_i32 s1, s1, s4
	s_cmp_lg_u32 s0, 0
	s_cbranch_scc1 .LBB8_43
; %bb.44:
	v_mbcnt_lo_u32_b32 v0, exec_lo, 0
	s_mov_b32 s2, exec_lo
	v_cmpx_eq_u32_e32 0, v0
	s_xor_b32 s2, exec_lo, s2
	s_cbranch_execz .LBB8_46
; %bb.45:
	v_mov_b32_e32 v0, 0
	v_mov_b32_e32 v3, s1
	global_atomic_smin v0, v3, s[12:13]
.LBB8_46:
	s_or_b32 exec_lo, exec_lo, s3
	s_and_b32 exec_lo, exec_lo, vcc_lo
	s_cbranch_execz .LBB8_48
; %bb.47:
	v_add_co_u32 v0, vcc_lo, s8, v1
	v_add_co_ci_u32_e64 v1, null, s9, v2, vcc_lo
	v_mov_b32_e32 v2, 1
	s_waitcnt lgkmcnt(0)
	s_waitcnt_vscnt null, 0x0
	global_store_dword v[0:1], v2, off
.LBB8_48:
	s_endpgm
	.section	.rodata,"a",@progbits
	.p2align	6, 0x0
	.amdhsa_kernel _ZN9rocsparseL18csric0_hash_kernelILj256ELj64ELj2EfEEviPKiS2_PT2_S2_PiS2_S5_S5_d21rocsparse_index_base_
		.amdhsa_group_segment_fixed_size 4096
		.amdhsa_private_segment_fixed_size 0
		.amdhsa_kernarg_size 84
		.amdhsa_user_sgpr_count 6
		.amdhsa_user_sgpr_private_segment_buffer 1
		.amdhsa_user_sgpr_dispatch_ptr 0
		.amdhsa_user_sgpr_queue_ptr 0
		.amdhsa_user_sgpr_kernarg_segment_ptr 1
		.amdhsa_user_sgpr_dispatch_id 0
		.amdhsa_user_sgpr_flat_scratch_init 0
		.amdhsa_user_sgpr_private_segment_size 0
		.amdhsa_wavefront_size32 1
		.amdhsa_uses_dynamic_stack 0
		.amdhsa_system_sgpr_private_segment_wavefront_offset 0
		.amdhsa_system_sgpr_workgroup_id_x 1
		.amdhsa_system_sgpr_workgroup_id_y 0
		.amdhsa_system_sgpr_workgroup_id_z 0
		.amdhsa_system_sgpr_workgroup_info 0
		.amdhsa_system_vgpr_workitem_id 0
		.amdhsa_next_free_vgpr 31
		.amdhsa_next_free_sgpr 31
		.amdhsa_reserve_vcc 1
		.amdhsa_reserve_flat_scratch 0
		.amdhsa_float_round_mode_32 0
		.amdhsa_float_round_mode_16_64 0
		.amdhsa_float_denorm_mode_32 3
		.amdhsa_float_denorm_mode_16_64 3
		.amdhsa_dx10_clamp 1
		.amdhsa_ieee_mode 1
		.amdhsa_fp16_overflow 0
		.amdhsa_workgroup_processor_mode 1
		.amdhsa_memory_ordered 1
		.amdhsa_forward_progress 1
		.amdhsa_shared_vgpr_count 0
		.amdhsa_exception_fp_ieee_invalid_op 0
		.amdhsa_exception_fp_denorm_src 0
		.amdhsa_exception_fp_ieee_div_zero 0
		.amdhsa_exception_fp_ieee_overflow 0
		.amdhsa_exception_fp_ieee_underflow 0
		.amdhsa_exception_fp_ieee_inexact 0
		.amdhsa_exception_int_div_zero 0
	.end_amdhsa_kernel
	.section	.text._ZN9rocsparseL18csric0_hash_kernelILj256ELj64ELj2EfEEviPKiS2_PT2_S2_PiS2_S5_S5_d21rocsparse_index_base_,"axG",@progbits,_ZN9rocsparseL18csric0_hash_kernelILj256ELj64ELj2EfEEviPKiS2_PT2_S2_PiS2_S5_S5_d21rocsparse_index_base_,comdat
.Lfunc_end8:
	.size	_ZN9rocsparseL18csric0_hash_kernelILj256ELj64ELj2EfEEviPKiS2_PT2_S2_PiS2_S5_S5_d21rocsparse_index_base_, .Lfunc_end8-_ZN9rocsparseL18csric0_hash_kernelILj256ELj64ELj2EfEEviPKiS2_PT2_S2_PiS2_S5_S5_d21rocsparse_index_base_
                                        ; -- End function
	.set _ZN9rocsparseL18csric0_hash_kernelILj256ELj64ELj2EfEEviPKiS2_PT2_S2_PiS2_S5_S5_d21rocsparse_index_base_.num_vgpr, 31
	.set _ZN9rocsparseL18csric0_hash_kernelILj256ELj64ELj2EfEEviPKiS2_PT2_S2_PiS2_S5_S5_d21rocsparse_index_base_.num_agpr, 0
	.set _ZN9rocsparseL18csric0_hash_kernelILj256ELj64ELj2EfEEviPKiS2_PT2_S2_PiS2_S5_S5_d21rocsparse_index_base_.numbered_sgpr, 31
	.set _ZN9rocsparseL18csric0_hash_kernelILj256ELj64ELj2EfEEviPKiS2_PT2_S2_PiS2_S5_S5_d21rocsparse_index_base_.num_named_barrier, 0
	.set _ZN9rocsparseL18csric0_hash_kernelILj256ELj64ELj2EfEEviPKiS2_PT2_S2_PiS2_S5_S5_d21rocsparse_index_base_.private_seg_size, 0
	.set _ZN9rocsparseL18csric0_hash_kernelILj256ELj64ELj2EfEEviPKiS2_PT2_S2_PiS2_S5_S5_d21rocsparse_index_base_.uses_vcc, 1
	.set _ZN9rocsparseL18csric0_hash_kernelILj256ELj64ELj2EfEEviPKiS2_PT2_S2_PiS2_S5_S5_d21rocsparse_index_base_.uses_flat_scratch, 0
	.set _ZN9rocsparseL18csric0_hash_kernelILj256ELj64ELj2EfEEviPKiS2_PT2_S2_PiS2_S5_S5_d21rocsparse_index_base_.has_dyn_sized_stack, 0
	.set _ZN9rocsparseL18csric0_hash_kernelILj256ELj64ELj2EfEEviPKiS2_PT2_S2_PiS2_S5_S5_d21rocsparse_index_base_.has_recursion, 0
	.set _ZN9rocsparseL18csric0_hash_kernelILj256ELj64ELj2EfEEviPKiS2_PT2_S2_PiS2_S5_S5_d21rocsparse_index_base_.has_indirect_call, 0
	.section	.AMDGPU.csdata,"",@progbits
; Kernel info:
; codeLenInByte = 2220
; TotalNumSgprs: 33
; NumVgprs: 31
; ScratchSize: 0
; MemoryBound: 0
; FloatMode: 240
; IeeeMode: 1
; LDSByteSize: 4096 bytes/workgroup (compile time only)
; SGPRBlocks: 0
; VGPRBlocks: 3
; NumSGPRsForWavesPerEU: 33
; NumVGPRsForWavesPerEU: 31
; Occupancy: 16
; WaveLimiterHint : 1
; COMPUTE_PGM_RSRC2:SCRATCH_EN: 0
; COMPUTE_PGM_RSRC2:USER_SGPR: 6
; COMPUTE_PGM_RSRC2:TRAP_HANDLER: 0
; COMPUTE_PGM_RSRC2:TGID_X_EN: 1
; COMPUTE_PGM_RSRC2:TGID_Y_EN: 0
; COMPUTE_PGM_RSRC2:TGID_Z_EN: 0
; COMPUTE_PGM_RSRC2:TIDIG_COMP_CNT: 0
	.section	.text._ZN9rocsparseL18csric0_hash_kernelILj256ELj64ELj4EfEEviPKiS2_PT2_S2_PiS2_S5_S5_d21rocsparse_index_base_,"axG",@progbits,_ZN9rocsparseL18csric0_hash_kernelILj256ELj64ELj4EfEEviPKiS2_PT2_S2_PiS2_S5_S5_d21rocsparse_index_base_,comdat
	.globl	_ZN9rocsparseL18csric0_hash_kernelILj256ELj64ELj4EfEEviPKiS2_PT2_S2_PiS2_S5_S5_d21rocsparse_index_base_ ; -- Begin function _ZN9rocsparseL18csric0_hash_kernelILj256ELj64ELj4EfEEviPKiS2_PT2_S2_PiS2_S5_S5_d21rocsparse_index_base_
	.p2align	8
	.type	_ZN9rocsparseL18csric0_hash_kernelILj256ELj64ELj4EfEEviPKiS2_PT2_S2_PiS2_S5_S5_d21rocsparse_index_base_,@function
_ZN9rocsparseL18csric0_hash_kernelILj256ELj64ELj4EfEEviPKiS2_PT2_S2_PiS2_S5_S5_d21rocsparse_index_base_: ; @_ZN9rocsparseL18csric0_hash_kernelILj256ELj64ELj4EfEEviPKiS2_PT2_S2_PiS2_S5_S5_d21rocsparse_index_base_
; %bb.0:
	s_clause 0x1
	s_load_dwordx8 s[16:23], s[4:5], 0x8
	s_load_dwordx8 s[8:15], s[4:5], 0x28
	v_lshrrev_b32_e32 v1, 6, v0
	v_and_b32_e32 v12, 63, v0
	s_mov_b32 s0, 0
	v_lshlrev_b32_e32 v3, 10, v1
	v_lshlrev_b32_e32 v4, 2, v12
	v_or_b32_e32 v2, 0xffffffc0, v12
	v_or3_b32 v3, v3, v4, 0x1000
	v_mov_b32_e32 v4, -1
.LBB9_1:                                ; =>This Inner Loop Header: Depth=1
	v_add_nc_u32_e32 v2, 64, v2
	ds_write_b32 v3, v4
	v_add_nc_u32_e32 v3, 0x100, v3
	v_cmp_lt_u32_e32 vcc_lo, 0xbf, v2
	s_or_b32 s0, vcc_lo, s0
	s_andn2_b32 exec_lo, exec_lo, s0
	s_cbranch_execnz .LBB9_1
; %bb.2:
	s_or_b32 exec_lo, exec_lo, s0
	s_load_dword s0, s[4:5], 0x0
	s_lshl_b32 s1, s6, 2
	s_waitcnt lgkmcnt(0)
	buffer_gl0_inv
	v_and_or_b32 v1, 0x3fffffc, s1, v1
	v_cmp_gt_i32_e32 vcc_lo, s0, v1
	s_and_saveexec_b32 s0, vcc_lo
	s_cbranch_execz .LBB9_48
; %bb.3:
	v_lshlrev_b32_e32 v1, 2, v1
	s_load_dword s2, s[4:5], 0x50
	v_lshlrev_b32_e32 v0, 4, v0
	s_mov_b32 s0, exec_lo
	global_load_dword v3, v1, s[10:11]
	v_and_b32_e32 v0, 0xc00, v0
	v_or_b32_e32 v13, 0x1000, v0
	s_waitcnt vmcnt(0)
	v_ashrrev_i32_e32 v4, 31, v3
	v_lshlrev_b64 v[1:2], 2, v[3:4]
	v_add_co_u32 v4, vcc_lo, s16, v1
	v_add_co_ci_u32_e64 v5, null, s17, v2, vcc_lo
	v_add_co_u32 v7, vcc_lo, s22, v1
	v_add_co_ci_u32_e64 v8, null, s23, v2, vcc_lo
	global_load_dwordx2 v[5:6], v[4:5], off
	global_load_dword v4, v[7:8], off
	s_waitcnt vmcnt(1) lgkmcnt(0)
	v_subrev_nc_u32_e32 v5, s2, v5
	v_subrev_nc_u32_e32 v8, s2, v6
	v_add_nc_u32_e32 v6, v5, v12
	v_cmpx_lt_i32_e64 v6, v8
	s_cbranch_execz .LBB9_13
; %bb.4:
	v_mov_b32_e32 v9, -1
	s_mov_b32 s1, 0
	s_branch .LBB9_6
.LBB9_5:                                ;   in Loop: Header=BB9_6 Depth=1
	s_or_b32 exec_lo, exec_lo, s3
	v_add_nc_u32_e32 v6, 64, v6
	v_cmp_ge_i32_e32 vcc_lo, v6, v8
	s_or_b32 s1, vcc_lo, s1
	s_andn2_b32 exec_lo, exec_lo, s1
	s_cbranch_execz .LBB9_13
.LBB9_6:                                ; =>This Loop Header: Depth=1
                                        ;     Child Loop BB9_9 Depth 2
	v_ashrrev_i32_e32 v7, 31, v6
	s_mov_b32 s3, exec_lo
	v_lshlrev_b64 v[10:11], 2, v[6:7]
	v_add_co_u32 v10, vcc_lo, s18, v10
	v_add_co_ci_u32_e64 v11, null, s19, v11, vcc_lo
	global_load_dword v7, v[10:11], off
	s_waitcnt vmcnt(0)
	v_mul_lo_u32 v10, 0x67, v7
	v_and_b32_e32 v10, 0xff, v10
	v_lshl_add_u32 v11, v10, 2, v13
	ds_read_b32 v14, v11
	s_waitcnt lgkmcnt(0)
	v_cmpx_ne_u32_e64 v14, v7
	s_cbranch_execz .LBB9_5
; %bb.7:                                ;   in Loop: Header=BB9_6 Depth=1
	s_mov_b32 s6, 0
                                        ; implicit-def: $sgpr7
                                        ; implicit-def: $sgpr11
                                        ; implicit-def: $sgpr10
	s_inst_prefetch 0x1
	s_branch .LBB9_9
	.p2align	6
.LBB9_8:                                ;   in Loop: Header=BB9_9 Depth=2
	s_or_b32 exec_lo, exec_lo, s24
	s_and_b32 s24, exec_lo, s11
	s_or_b32 s6, s24, s6
	s_andn2_b32 s7, s7, exec_lo
	s_and_b32 s24, s10, exec_lo
	s_or_b32 s7, s7, s24
	s_andn2_b32 exec_lo, exec_lo, s6
	s_cbranch_execz .LBB9_11
.LBB9_9:                                ;   Parent Loop BB9_6 Depth=1
                                        ; =>  This Inner Loop Header: Depth=2
	ds_cmpst_rtn_b32 v11, v11, v9, v7
	v_mov_b32_e32 v14, v10
	s_or_b32 s10, s10, exec_lo
	s_or_b32 s11, s11, exec_lo
                                        ; implicit-def: $vgpr10
	s_waitcnt lgkmcnt(0)
	v_cmp_ne_u32_e32 vcc_lo, -1, v11
                                        ; implicit-def: $vgpr11
	s_and_saveexec_b32 s24, vcc_lo
	s_cbranch_execz .LBB9_8
; %bb.10:                               ;   in Loop: Header=BB9_9 Depth=2
	v_add_nc_u32_e32 v10, 1, v14
	s_andn2_b32 s11, s11, exec_lo
	s_andn2_b32 s10, s10, exec_lo
	v_and_b32_e32 v10, 0xff, v10
	v_lshl_add_u32 v11, v10, 2, v13
	ds_read_b32 v15, v11
	s_waitcnt lgkmcnt(0)
	v_cmp_eq_u32_e32 vcc_lo, v15, v7
	s_and_b32 s25, vcc_lo, exec_lo
	s_or_b32 s11, s11, s25
	s_branch .LBB9_8
.LBB9_11:                               ;   in Loop: Header=BB9_6 Depth=1
	s_inst_prefetch 0x2
	s_or_b32 exec_lo, exec_lo, s6
	s_and_saveexec_b32 s6, s7
	s_xor_b32 s6, exec_lo, s6
	s_cbranch_execz .LBB9_5
; %bb.12:                               ;   in Loop: Header=BB9_6 Depth=1
	v_lshl_add_u32 v7, v14, 2, v0
	ds_write_b32 v7, v6
	s_branch .LBB9_5
.LBB9_13:
	s_or_b32 exec_lo, exec_lo, s0
	v_mov_b32_e32 v14, 0
	s_mov_b32 s3, exec_lo
	s_waitcnt vmcnt(0) lgkmcnt(0)
	buffer_gl0_inv
	v_cmpx_lt_i32_e64 v5, v4
	s_cbranch_execz .LBB9_35
; %bb.14:
	v_mbcnt_lo_u32_b32 v15, -1, 0
	v_add_nc_u32_e32 v16, -1, v4
	v_subrev_nc_u32_e32 v17, s2, v12
	v_cmp_eq_u32_e64 s0, 63, v12
	v_mov_b32_e32 v14, 0
	v_or_b32_e32 v18, 32, v15
	v_xor_b32_e32 v19, 16, v15
	v_xor_b32_e32 v20, 8, v15
	;; [unrolled: 1-line block ×5, first 2 shown]
	s_mov_b32 s6, 0
	s_branch .LBB9_17
.LBB9_15:                               ;   in Loop: Header=BB9_17 Depth=1
	s_or_b32 exec_lo, exec_lo, s10
.LBB9_16:                               ;   in Loop: Header=BB9_17 Depth=1
	s_or_b32 exec_lo, exec_lo, s7
	v_add_nc_u32_e32 v5, 1, v5
	s_xor_b32 s1, s1, -1
	v_cmp_ge_i32_e32 vcc_lo, v5, v4
	s_or_b32 s1, s1, vcc_lo
	s_and_b32 s1, exec_lo, s1
	s_or_b32 s6, s1, s6
	s_andn2_b32 exec_lo, exec_lo, s6
	s_cbranch_execz .LBB9_34
.LBB9_17:                               ; =>This Loop Header: Depth=1
                                        ;     Child Loop BB9_18 Depth 2
                                        ;     Child Loop BB9_24 Depth 2
                                        ;       Child Loop BB9_27 Depth 3
	v_ashrrev_i32_e32 v6, 31, v5
	s_mov_b32 s1, 0
	v_lshlrev_b64 v[6:7], 2, v[5:6]
	v_add_co_u32 v8, vcc_lo, s18, v6
	s_waitcnt lgkmcnt(0)
	v_add_co_ci_u32_e64 v9, null, s19, v7, vcc_lo
	v_add_co_u32 v6, vcc_lo, s20, v6
	v_add_co_ci_u32_e64 v7, null, s21, v7, vcc_lo
	global_load_dword v8, v[8:9], off
	s_waitcnt vmcnt(0)
	v_subrev_nc_u32_e32 v8, s2, v8
	v_ashrrev_i32_e32 v9, 31, v8
	v_lshlrev_b64 v[8:9], 2, v[8:9]
	v_add_co_u32 v10, vcc_lo, s16, v8
	v_add_co_ci_u32_e64 v11, null, s17, v9, vcc_lo
	v_add_co_u32 v25, vcc_lo, s22, v8
	v_add_co_ci_u32_e64 v26, null, s23, v9, vcc_lo
	global_load_dword v24, v[6:7], off
	global_load_dword v10, v[10:11], off
	;; [unrolled: 1-line block ×3, first 2 shown]
	v_add_co_u32 v8, vcc_lo, s8, v8
	v_add_co_ci_u32_e64 v9, null, s9, v9, vcc_lo
.LBB9_18:                               ;   Parent Loop BB9_17 Depth=1
                                        ; =>  This Inner Loop Header: Depth=2
	global_load_dword v25, v[8:9], off glc dlc
	s_waitcnt vmcnt(0)
	v_cmp_ne_u32_e32 vcc_lo, 0, v25
	s_or_b32 s1, vcc_lo, s1
	s_andn2_b32 exec_lo, exec_lo, s1
	s_cbranch_execnz .LBB9_18
; %bb.19:                               ;   in Loop: Header=BB9_17 Depth=1
	s_or_b32 exec_lo, exec_lo, s1
	v_cmp_eq_u32_e32 vcc_lo, -1, v11
	buffer_gl1_inv
	buffer_gl0_inv
	v_cndmask_b32_e32 v8, v11, v16, vcc_lo
	v_ashrrev_i32_e32 v9, 31, v8
	v_lshlrev_b64 v[25:26], 2, v[8:9]
	v_add_co_u32 v25, vcc_lo, s20, v25
	v_add_co_ci_u32_e64 v26, null, s21, v26, vcc_lo
	global_load_dword v25, v[25:26], off
	s_waitcnt vmcnt(0)
	v_cmp_neq_f32_e64 s1, 0, v25
	s_and_saveexec_b32 s7, s1
	s_cbranch_execz .LBB9_16
; %bb.20:                               ;   in Loop: Header=BB9_17 Depth=1
	v_add_nc_u32_e32 v9, v17, v10
	v_mov_b32_e32 v26, 0
	s_mov_b32 s10, exec_lo
	v_cmpx_lt_i32_e64 v9, v8
	s_cbranch_execz .LBB9_32
; %bb.21:                               ;   in Loop: Header=BB9_17 Depth=1
	v_mov_b32_e32 v26, 0
	s_mov_b32 s11, 0
	s_branch .LBB9_24
.LBB9_22:                               ;   in Loop: Header=BB9_24 Depth=2
	s_or_b32 exec_lo, exec_lo, s25
.LBB9_23:                               ;   in Loop: Header=BB9_24 Depth=2
	s_or_b32 exec_lo, exec_lo, s24
	v_add_nc_u32_e32 v9, 64, v9
	v_cmp_ge_i32_e32 vcc_lo, v9, v8
	s_or_b32 s11, vcc_lo, s11
	s_andn2_b32 exec_lo, exec_lo, s11
	s_cbranch_execz .LBB9_31
.LBB9_24:                               ;   Parent Loop BB9_17 Depth=1
                                        ; =>  This Loop Header: Depth=2
                                        ;       Child Loop BB9_27 Depth 3
	v_ashrrev_i32_e32 v10, 31, v9
	s_mov_b32 s24, exec_lo
	v_lshlrev_b64 v[10:11], 2, v[9:10]
	v_add_co_u32 v27, vcc_lo, s18, v10
	v_add_co_ci_u32_e64 v28, null, s19, v11, vcc_lo
	global_load_dword v27, v[27:28], off
	s_waitcnt vmcnt(0)
	v_mul_lo_u32 v28, 0x67, v27
	v_and_b32_e32 v30, 0xff, v28
	v_lshl_add_u32 v28, v30, 2, v13
	ds_read_b32 v29, v28
	s_waitcnt lgkmcnt(0)
	v_cmpx_ne_u32_e32 -1, v29
	s_cbranch_execz .LBB9_23
; %bb.25:                               ;   in Loop: Header=BB9_24 Depth=2
	s_mov_b32 s25, 0
                                        ; implicit-def: $sgpr26
                                        ; implicit-def: $sgpr28
                                        ; implicit-def: $sgpr27
	s_inst_prefetch 0x1
	s_branch .LBB9_27
	.p2align	6
.LBB9_26:                               ;   in Loop: Header=BB9_27 Depth=3
	s_or_b32 exec_lo, exec_lo, s29
	s_and_b32 s29, exec_lo, s28
	s_or_b32 s25, s29, s25
	s_andn2_b32 s26, s26, exec_lo
	s_and_b32 s29, s27, exec_lo
	s_or_b32 s26, s26, s29
	s_andn2_b32 exec_lo, exec_lo, s25
	s_cbranch_execz .LBB9_29
.LBB9_27:                               ;   Parent Loop BB9_17 Depth=1
                                        ;     Parent Loop BB9_24 Depth=2
                                        ; =>    This Inner Loop Header: Depth=3
	v_mov_b32_e32 v28, v30
	v_cmp_ne_u32_e32 vcc_lo, v29, v27
	s_or_b32 s27, s27, exec_lo
	s_or_b32 s28, s28, exec_lo
                                        ; implicit-def: $vgpr30
                                        ; implicit-def: $vgpr29
	s_and_saveexec_b32 s29, vcc_lo
	s_cbranch_execz .LBB9_26
; %bb.28:                               ;   in Loop: Header=BB9_27 Depth=3
	v_add_nc_u32_e32 v29, 1, v28
	s_andn2_b32 s28, s28, exec_lo
	s_andn2_b32 s27, s27, exec_lo
	v_and_b32_e32 v30, 0xff, v29
	v_lshl_add_u32 v29, v30, 2, v13
	ds_read_b32 v29, v29
	s_waitcnt lgkmcnt(0)
	v_cmp_eq_u32_e32 vcc_lo, -1, v29
	s_and_b32 s30, vcc_lo, exec_lo
	s_or_b32 s28, s28, s30
	s_branch .LBB9_26
.LBB9_29:                               ;   in Loop: Header=BB9_24 Depth=2
	s_inst_prefetch 0x2
	s_or_b32 exec_lo, exec_lo, s25
	s_and_saveexec_b32 s25, s26
	s_xor_b32 s25, exec_lo, s25
	s_cbranch_execz .LBB9_22
; %bb.30:                               ;   in Loop: Header=BB9_24 Depth=2
	v_lshl_add_u32 v27, v28, 2, v0
	v_add_co_u32 v10, vcc_lo, s20, v10
	v_add_co_ci_u32_e64 v11, null, s21, v11, vcc_lo
	ds_read_b32 v27, v27
	s_waitcnt lgkmcnt(0)
	v_ashrrev_i32_e32 v28, 31, v27
	v_lshlrev_b64 v[27:28], 2, v[27:28]
	v_add_co_u32 v27, vcc_lo, s20, v27
	v_add_co_ci_u32_e64 v28, null, s21, v28, vcc_lo
	s_clause 0x1
	global_load_dword v10, v[10:11], off
	global_load_dword v11, v[27:28], off
	s_waitcnt vmcnt(0)
	v_fmac_f32_e32 v26, v10, v11
	s_branch .LBB9_22
.LBB9_31:                               ;   in Loop: Header=BB9_17 Depth=1
	s_or_b32 exec_lo, exec_lo, s11
.LBB9_32:                               ;   in Loop: Header=BB9_17 Depth=1
	s_or_b32 exec_lo, exec_lo, s10
	v_cmp_gt_i32_e32 vcc_lo, 32, v18
	v_cndmask_b32_e32 v8, v15, v18, vcc_lo
	v_cmp_gt_i32_e32 vcc_lo, 32, v19
	v_lshlrev_b32_e32 v8, 2, v8
	v_cndmask_b32_e32 v9, v15, v19, vcc_lo
	v_cmp_gt_i32_e32 vcc_lo, 32, v20
	ds_bpermute_b32 v8, v8, v26
	v_lshlrev_b32_e32 v9, 2, v9
	v_cndmask_b32_e32 v10, v15, v20, vcc_lo
	v_cmp_gt_i32_e32 vcc_lo, 32, v21
	v_lshlrev_b32_e32 v10, 2, v10
	s_waitcnt lgkmcnt(0)
	v_add_f32_e32 v8, v26, v8
	ds_bpermute_b32 v9, v9, v8
	s_waitcnt lgkmcnt(0)
	v_add_f32_e32 v8, v8, v9
	ds_bpermute_b32 v9, v10, v8
	v_cndmask_b32_e32 v10, v15, v21, vcc_lo
	v_cmp_gt_i32_e32 vcc_lo, 32, v22
	v_lshlrev_b32_e32 v10, 2, v10
	s_waitcnt lgkmcnt(0)
	v_add_f32_e32 v8, v8, v9
	ds_bpermute_b32 v9, v10, v8
	v_cndmask_b32_e32 v10, v15, v22, vcc_lo
	v_cmp_gt_i32_e32 vcc_lo, 32, v23
	v_lshlrev_b32_e32 v10, 2, v10
	s_waitcnt lgkmcnt(0)
	v_add_f32_e32 v8, v8, v9
	ds_bpermute_b32 v9, v10, v8
	v_cndmask_b32_e32 v10, v15, v23, vcc_lo
	s_waitcnt lgkmcnt(0)
	v_add_f32_e32 v8, v8, v9
	v_lshlrev_b32_e32 v9, 2, v10
	ds_bpermute_b32 v9, v9, v8
	s_and_saveexec_b32 s10, s0
	s_cbranch_execz .LBB9_15
; %bb.33:                               ;   in Loop: Header=BB9_17 Depth=1
	v_div_scale_f32 v10, null, v25, v25, 1.0
	v_div_scale_f32 v27, vcc_lo, 1.0, v25, 1.0
	s_waitcnt lgkmcnt(0)
	v_add_f32_e32 v8, v8, v9
	v_rcp_f32_e32 v11, v10
	v_sub_f32_e32 v8, v24, v8
	v_fma_f32 v26, -v10, v11, 1.0
	v_fmac_f32_e32 v11, v26, v11
	v_mul_f32_e32 v26, v27, v11
	v_fma_f32 v28, -v10, v26, v27
	v_fmac_f32_e32 v26, v28, v11
	v_fma_f32 v10, -v10, v26, v27
	v_div_fmas_f32 v10, v10, v11, v26
	v_div_fixup_f32 v9, v10, v25, 1.0
	v_mul_f32_e32 v8, v9, v8
	v_fmac_f32_e32 v14, v8, v8
	global_store_dword v[6:7], v8, off
	s_branch .LBB9_15
.LBB9_34:
	s_or_b32 exec_lo, exec_lo, s6
.LBB9_35:
	s_or_b32 exec_lo, exec_lo, s3
	v_cmp_eq_u32_e32 vcc_lo, 63, v12
	v_cmp_lt_i32_e64 s0, -1, v4
	s_and_b32 s0, vcc_lo, s0
	s_and_saveexec_b32 s3, s0
	s_cbranch_execz .LBB9_46
; %bb.36:
	v_mov_b32_e32 v5, 0
	v_lshlrev_b64 v[4:5], 2, v[4:5]
	v_add_co_u32 v4, s0, s20, v4
	v_add_co_ci_u32_e64 v5, null, s21, v5, s0
	s_load_dwordx2 s[0:1], s[4:5], 0x48
	global_load_dword v0, v[4:5], off
	s_waitcnt lgkmcnt(0)
	v_mul_f64 v[7:8], s[0:1], s[0:1]
	s_mov_b32 s1, exec_lo
	s_waitcnt vmcnt(0)
	v_sub_f32_e32 v6, v0, v14
	v_add_nc_u32_e32 v0, s2, v3
	v_cvt_f64_f32_e32 v[9:10], v6
	v_cmpx_ge_f64_e32 v[7:8], v[9:10]
	s_cbranch_execz .LBB9_41
; %bb.37:
	s_mov_b32 s0, exec_lo
	s_brev_b32 s2, -2
.LBB9_38:                               ; =>This Inner Loop Header: Depth=1
	s_ff1_i32_b32 s4, s0
	v_readlane_b32 s5, v0, s4
	s_lshl_b32 s4, 1, s4
	s_andn2_b32 s0, s0, s4
	s_min_i32 s2, s2, s5
	s_cmp_lg_u32 s0, 0
	s_cbranch_scc1 .LBB9_38
; %bb.39:
	v_mbcnt_lo_u32_b32 v3, exec_lo, 0
	s_mov_b32 s4, exec_lo
	v_cmpx_eq_u32_e32 0, v3
	s_xor_b32 s4, exec_lo, s4
	s_cbranch_execz .LBB9_41
; %bb.40:
	v_mov_b32_e32 v3, 0
	v_mov_b32_e32 v7, s2
	global_atomic_smin v3, v7, s[14:15]
.LBB9_41:
	s_or_b32 exec_lo, exec_lo, s1
	v_cmp_gt_f32_e64 s0, 0, v6
	v_cndmask_b32_e64 v3, v6, -v6, s0
	v_mul_f32_e32 v7, 0x4f800000, v3
	v_cmp_gt_f32_e64 s0, 0xf800000, v3
	v_cndmask_b32_e64 v3, v3, v7, s0
	v_sqrt_f32_e32 v7, v3
	v_add_nc_u32_e32 v8, -1, v7
	v_add_nc_u32_e32 v9, 1, v7
	v_fma_f32 v10, -v8, v7, v3
	v_fma_f32 v11, -v9, v7, v3
	v_cmp_ge_f32_e64 s1, 0, v10
	v_cndmask_b32_e64 v7, v7, v8, s1
	v_cmp_lt_f32_e64 s1, 0, v11
	v_cndmask_b32_e64 v7, v7, v9, s1
	v_mul_f32_e32 v8, 0x37800000, v7
	v_cndmask_b32_e64 v7, v7, v8, s0
	v_cmp_class_f32_e64 s0, v3, 0x260
	v_cndmask_b32_e64 v3, v7, v3, s0
	v_cmp_eq_f32_e64 s0, 0, v6
	global_store_dword v[4:5], v3, off
	s_and_b32 exec_lo, exec_lo, s0
	s_cbranch_execz .LBB9_46
; %bb.42:
	s_mov_b32 s0, exec_lo
	s_brev_b32 s1, -2
.LBB9_43:                               ; =>This Inner Loop Header: Depth=1
	s_ff1_i32_b32 s2, s0
	v_readlane_b32 s4, v0, s2
	s_lshl_b32 s2, 1, s2
	s_andn2_b32 s0, s0, s2
	s_min_i32 s1, s1, s4
	s_cmp_lg_u32 s0, 0
	s_cbranch_scc1 .LBB9_43
; %bb.44:
	v_mbcnt_lo_u32_b32 v0, exec_lo, 0
	s_mov_b32 s2, exec_lo
	v_cmpx_eq_u32_e32 0, v0
	s_xor_b32 s2, exec_lo, s2
	s_cbranch_execz .LBB9_46
; %bb.45:
	v_mov_b32_e32 v0, 0
	v_mov_b32_e32 v3, s1
	global_atomic_smin v0, v3, s[12:13]
.LBB9_46:
	s_or_b32 exec_lo, exec_lo, s3
	s_and_b32 exec_lo, exec_lo, vcc_lo
	s_cbranch_execz .LBB9_48
; %bb.47:
	v_add_co_u32 v0, vcc_lo, s8, v1
	v_add_co_ci_u32_e64 v1, null, s9, v2, vcc_lo
	v_mov_b32_e32 v2, 1
	s_waitcnt lgkmcnt(0)
	s_waitcnt_vscnt null, 0x0
	global_store_dword v[0:1], v2, off
.LBB9_48:
	s_endpgm
	.section	.rodata,"a",@progbits
	.p2align	6, 0x0
	.amdhsa_kernel _ZN9rocsparseL18csric0_hash_kernelILj256ELj64ELj4EfEEviPKiS2_PT2_S2_PiS2_S5_S5_d21rocsparse_index_base_
		.amdhsa_group_segment_fixed_size 8192
		.amdhsa_private_segment_fixed_size 0
		.amdhsa_kernarg_size 84
		.amdhsa_user_sgpr_count 6
		.amdhsa_user_sgpr_private_segment_buffer 1
		.amdhsa_user_sgpr_dispatch_ptr 0
		.amdhsa_user_sgpr_queue_ptr 0
		.amdhsa_user_sgpr_kernarg_segment_ptr 1
		.amdhsa_user_sgpr_dispatch_id 0
		.amdhsa_user_sgpr_flat_scratch_init 0
		.amdhsa_user_sgpr_private_segment_size 0
		.amdhsa_wavefront_size32 1
		.amdhsa_uses_dynamic_stack 0
		.amdhsa_system_sgpr_private_segment_wavefront_offset 0
		.amdhsa_system_sgpr_workgroup_id_x 1
		.amdhsa_system_sgpr_workgroup_id_y 0
		.amdhsa_system_sgpr_workgroup_id_z 0
		.amdhsa_system_sgpr_workgroup_info 0
		.amdhsa_system_vgpr_workitem_id 0
		.amdhsa_next_free_vgpr 31
		.amdhsa_next_free_sgpr 31
		.amdhsa_reserve_vcc 1
		.amdhsa_reserve_flat_scratch 0
		.amdhsa_float_round_mode_32 0
		.amdhsa_float_round_mode_16_64 0
		.amdhsa_float_denorm_mode_32 3
		.amdhsa_float_denorm_mode_16_64 3
		.amdhsa_dx10_clamp 1
		.amdhsa_ieee_mode 1
		.amdhsa_fp16_overflow 0
		.amdhsa_workgroup_processor_mode 1
		.amdhsa_memory_ordered 1
		.amdhsa_forward_progress 1
		.amdhsa_shared_vgpr_count 0
		.amdhsa_exception_fp_ieee_invalid_op 0
		.amdhsa_exception_fp_denorm_src 0
		.amdhsa_exception_fp_ieee_div_zero 0
		.amdhsa_exception_fp_ieee_overflow 0
		.amdhsa_exception_fp_ieee_underflow 0
		.amdhsa_exception_fp_ieee_inexact 0
		.amdhsa_exception_int_div_zero 0
	.end_amdhsa_kernel
	.section	.text._ZN9rocsparseL18csric0_hash_kernelILj256ELj64ELj4EfEEviPKiS2_PT2_S2_PiS2_S5_S5_d21rocsparse_index_base_,"axG",@progbits,_ZN9rocsparseL18csric0_hash_kernelILj256ELj64ELj4EfEEviPKiS2_PT2_S2_PiS2_S5_S5_d21rocsparse_index_base_,comdat
.Lfunc_end9:
	.size	_ZN9rocsparseL18csric0_hash_kernelILj256ELj64ELj4EfEEviPKiS2_PT2_S2_PiS2_S5_S5_d21rocsparse_index_base_, .Lfunc_end9-_ZN9rocsparseL18csric0_hash_kernelILj256ELj64ELj4EfEEviPKiS2_PT2_S2_PiS2_S5_S5_d21rocsparse_index_base_
                                        ; -- End function
	.set _ZN9rocsparseL18csric0_hash_kernelILj256ELj64ELj4EfEEviPKiS2_PT2_S2_PiS2_S5_S5_d21rocsparse_index_base_.num_vgpr, 31
	.set _ZN9rocsparseL18csric0_hash_kernelILj256ELj64ELj4EfEEviPKiS2_PT2_S2_PiS2_S5_S5_d21rocsparse_index_base_.num_agpr, 0
	.set _ZN9rocsparseL18csric0_hash_kernelILj256ELj64ELj4EfEEviPKiS2_PT2_S2_PiS2_S5_S5_d21rocsparse_index_base_.numbered_sgpr, 31
	.set _ZN9rocsparseL18csric0_hash_kernelILj256ELj64ELj4EfEEviPKiS2_PT2_S2_PiS2_S5_S5_d21rocsparse_index_base_.num_named_barrier, 0
	.set _ZN9rocsparseL18csric0_hash_kernelILj256ELj64ELj4EfEEviPKiS2_PT2_S2_PiS2_S5_S5_d21rocsparse_index_base_.private_seg_size, 0
	.set _ZN9rocsparseL18csric0_hash_kernelILj256ELj64ELj4EfEEviPKiS2_PT2_S2_PiS2_S5_S5_d21rocsparse_index_base_.uses_vcc, 1
	.set _ZN9rocsparseL18csric0_hash_kernelILj256ELj64ELj4EfEEviPKiS2_PT2_S2_PiS2_S5_S5_d21rocsparse_index_base_.uses_flat_scratch, 0
	.set _ZN9rocsparseL18csric0_hash_kernelILj256ELj64ELj4EfEEviPKiS2_PT2_S2_PiS2_S5_S5_d21rocsparse_index_base_.has_dyn_sized_stack, 0
	.set _ZN9rocsparseL18csric0_hash_kernelILj256ELj64ELj4EfEEviPKiS2_PT2_S2_PiS2_S5_S5_d21rocsparse_index_base_.has_recursion, 0
	.set _ZN9rocsparseL18csric0_hash_kernelILj256ELj64ELj4EfEEviPKiS2_PT2_S2_PiS2_S5_S5_d21rocsparse_index_base_.has_indirect_call, 0
	.section	.AMDGPU.csdata,"",@progbits
; Kernel info:
; codeLenInByte = 2220
; TotalNumSgprs: 33
; NumVgprs: 31
; ScratchSize: 0
; MemoryBound: 0
; FloatMode: 240
; IeeeMode: 1
; LDSByteSize: 8192 bytes/workgroup (compile time only)
; SGPRBlocks: 0
; VGPRBlocks: 3
; NumSGPRsForWavesPerEU: 33
; NumVGPRsForWavesPerEU: 31
; Occupancy: 16
; WaveLimiterHint : 1
; COMPUTE_PGM_RSRC2:SCRATCH_EN: 0
; COMPUTE_PGM_RSRC2:USER_SGPR: 6
; COMPUTE_PGM_RSRC2:TRAP_HANDLER: 0
; COMPUTE_PGM_RSRC2:TGID_X_EN: 1
; COMPUTE_PGM_RSRC2:TGID_Y_EN: 0
; COMPUTE_PGM_RSRC2:TGID_Z_EN: 0
; COMPUTE_PGM_RSRC2:TIDIG_COMP_CNT: 0
	.section	.text._ZN9rocsparseL18csric0_hash_kernelILj256ELj64ELj8EfEEviPKiS2_PT2_S2_PiS2_S5_S5_d21rocsparse_index_base_,"axG",@progbits,_ZN9rocsparseL18csric0_hash_kernelILj256ELj64ELj8EfEEviPKiS2_PT2_S2_PiS2_S5_S5_d21rocsparse_index_base_,comdat
	.globl	_ZN9rocsparseL18csric0_hash_kernelILj256ELj64ELj8EfEEviPKiS2_PT2_S2_PiS2_S5_S5_d21rocsparse_index_base_ ; -- Begin function _ZN9rocsparseL18csric0_hash_kernelILj256ELj64ELj8EfEEviPKiS2_PT2_S2_PiS2_S5_S5_d21rocsparse_index_base_
	.p2align	8
	.type	_ZN9rocsparseL18csric0_hash_kernelILj256ELj64ELj8EfEEviPKiS2_PT2_S2_PiS2_S5_S5_d21rocsparse_index_base_,@function
_ZN9rocsparseL18csric0_hash_kernelILj256ELj64ELj8EfEEviPKiS2_PT2_S2_PiS2_S5_S5_d21rocsparse_index_base_: ; @_ZN9rocsparseL18csric0_hash_kernelILj256ELj64ELj8EfEEviPKiS2_PT2_S2_PiS2_S5_S5_d21rocsparse_index_base_
; %bb.0:
	s_clause 0x1
	s_load_dwordx8 s[16:23], s[4:5], 0x8
	s_load_dwordx8 s[8:15], s[4:5], 0x28
	v_lshrrev_b32_e32 v1, 6, v0
	v_and_b32_e32 v12, 63, v0
	s_mov_b32 s0, 0
	v_lshlrev_b32_e32 v3, 11, v1
	v_lshlrev_b32_e32 v4, 2, v12
	v_or_b32_e32 v2, 0xffffffc0, v12
	v_or3_b32 v3, v3, v4, 0x2000
	v_mov_b32_e32 v4, -1
.LBB10_1:                               ; =>This Inner Loop Header: Depth=1
	v_add_nc_u32_e32 v2, 64, v2
	ds_write_b32 v3, v4
	v_add_nc_u32_e32 v3, 0x100, v3
	v_cmp_lt_u32_e32 vcc_lo, 0x1bf, v2
	s_or_b32 s0, vcc_lo, s0
	s_andn2_b32 exec_lo, exec_lo, s0
	s_cbranch_execnz .LBB10_1
; %bb.2:
	s_or_b32 exec_lo, exec_lo, s0
	s_load_dword s0, s[4:5], 0x0
	s_lshl_b32 s1, s6, 2
	s_waitcnt lgkmcnt(0)
	buffer_gl0_inv
	v_and_or_b32 v1, 0x3fffffc, s1, v1
	v_cmp_gt_i32_e32 vcc_lo, s0, v1
	s_and_saveexec_b32 s0, vcc_lo
	s_cbranch_execz .LBB10_48
; %bb.3:
	v_lshlrev_b32_e32 v1, 2, v1
	s_load_dword s2, s[4:5], 0x50
	v_lshlrev_b32_e32 v0, 5, v0
	s_mov_b32 s0, exec_lo
	global_load_dword v3, v1, s[10:11]
	v_and_b32_e32 v0, 0x1800, v0
	v_or_b32_e32 v13, 0x2000, v0
	s_waitcnt vmcnt(0)
	v_ashrrev_i32_e32 v4, 31, v3
	v_lshlrev_b64 v[1:2], 2, v[3:4]
	v_add_co_u32 v4, vcc_lo, s16, v1
	v_add_co_ci_u32_e64 v5, null, s17, v2, vcc_lo
	v_add_co_u32 v7, vcc_lo, s22, v1
	v_add_co_ci_u32_e64 v8, null, s23, v2, vcc_lo
	global_load_dwordx2 v[5:6], v[4:5], off
	global_load_dword v4, v[7:8], off
	s_waitcnt vmcnt(1) lgkmcnt(0)
	v_subrev_nc_u32_e32 v5, s2, v5
	v_subrev_nc_u32_e32 v8, s2, v6
	v_add_nc_u32_e32 v6, v5, v12
	v_cmpx_lt_i32_e64 v6, v8
	s_cbranch_execz .LBB10_13
; %bb.4:
	v_mov_b32_e32 v9, -1
	s_mov_b32 s1, 0
	s_branch .LBB10_6
.LBB10_5:                               ;   in Loop: Header=BB10_6 Depth=1
	s_or_b32 exec_lo, exec_lo, s3
	v_add_nc_u32_e32 v6, 64, v6
	v_cmp_ge_i32_e32 vcc_lo, v6, v8
	s_or_b32 s1, vcc_lo, s1
	s_andn2_b32 exec_lo, exec_lo, s1
	s_cbranch_execz .LBB10_13
.LBB10_6:                               ; =>This Loop Header: Depth=1
                                        ;     Child Loop BB10_9 Depth 2
	v_ashrrev_i32_e32 v7, 31, v6
	s_mov_b32 s3, exec_lo
	v_lshlrev_b64 v[10:11], 2, v[6:7]
	v_add_co_u32 v10, vcc_lo, s18, v10
	v_add_co_ci_u32_e64 v11, null, s19, v11, vcc_lo
	global_load_dword v7, v[10:11], off
	s_waitcnt vmcnt(0)
	v_mul_lo_u32 v10, 0x67, v7
	v_and_b32_e32 v10, 0x1ff, v10
	v_lshl_add_u32 v11, v10, 2, v13
	ds_read_b32 v14, v11
	s_waitcnt lgkmcnt(0)
	v_cmpx_ne_u32_e64 v14, v7
	s_cbranch_execz .LBB10_5
; %bb.7:                                ;   in Loop: Header=BB10_6 Depth=1
	s_mov_b32 s6, 0
                                        ; implicit-def: $sgpr7
                                        ; implicit-def: $sgpr11
                                        ; implicit-def: $sgpr10
	s_inst_prefetch 0x1
	s_branch .LBB10_9
	.p2align	6
.LBB10_8:                               ;   in Loop: Header=BB10_9 Depth=2
	s_or_b32 exec_lo, exec_lo, s24
	s_and_b32 s24, exec_lo, s11
	s_or_b32 s6, s24, s6
	s_andn2_b32 s7, s7, exec_lo
	s_and_b32 s24, s10, exec_lo
	s_or_b32 s7, s7, s24
	s_andn2_b32 exec_lo, exec_lo, s6
	s_cbranch_execz .LBB10_11
.LBB10_9:                               ;   Parent Loop BB10_6 Depth=1
                                        ; =>  This Inner Loop Header: Depth=2
	ds_cmpst_rtn_b32 v11, v11, v9, v7
	v_mov_b32_e32 v14, v10
	s_or_b32 s10, s10, exec_lo
	s_or_b32 s11, s11, exec_lo
                                        ; implicit-def: $vgpr10
	s_waitcnt lgkmcnt(0)
	v_cmp_ne_u32_e32 vcc_lo, -1, v11
                                        ; implicit-def: $vgpr11
	s_and_saveexec_b32 s24, vcc_lo
	s_cbranch_execz .LBB10_8
; %bb.10:                               ;   in Loop: Header=BB10_9 Depth=2
	v_add_nc_u32_e32 v10, 1, v14
	s_andn2_b32 s11, s11, exec_lo
	s_andn2_b32 s10, s10, exec_lo
	v_and_b32_e32 v10, 0x1ff, v10
	v_lshl_add_u32 v11, v10, 2, v13
	ds_read_b32 v15, v11
	s_waitcnt lgkmcnt(0)
	v_cmp_eq_u32_e32 vcc_lo, v15, v7
	s_and_b32 s25, vcc_lo, exec_lo
	s_or_b32 s11, s11, s25
	s_branch .LBB10_8
.LBB10_11:                              ;   in Loop: Header=BB10_6 Depth=1
	s_inst_prefetch 0x2
	s_or_b32 exec_lo, exec_lo, s6
	s_and_saveexec_b32 s6, s7
	s_xor_b32 s6, exec_lo, s6
	s_cbranch_execz .LBB10_5
; %bb.12:                               ;   in Loop: Header=BB10_6 Depth=1
	v_lshl_add_u32 v7, v14, 2, v0
	ds_write_b32 v7, v6
	s_branch .LBB10_5
.LBB10_13:
	s_or_b32 exec_lo, exec_lo, s0
	v_mov_b32_e32 v14, 0
	s_mov_b32 s3, exec_lo
	s_waitcnt vmcnt(0) lgkmcnt(0)
	buffer_gl0_inv
	v_cmpx_lt_i32_e64 v5, v4
	s_cbranch_execz .LBB10_35
; %bb.14:
	v_mbcnt_lo_u32_b32 v15, -1, 0
	v_add_nc_u32_e32 v16, -1, v4
	v_subrev_nc_u32_e32 v17, s2, v12
	v_cmp_eq_u32_e64 s0, 63, v12
	v_mov_b32_e32 v14, 0
	v_or_b32_e32 v18, 32, v15
	v_xor_b32_e32 v19, 16, v15
	v_xor_b32_e32 v20, 8, v15
	;; [unrolled: 1-line block ×5, first 2 shown]
	s_mov_b32 s6, 0
	s_branch .LBB10_17
.LBB10_15:                              ;   in Loop: Header=BB10_17 Depth=1
	s_or_b32 exec_lo, exec_lo, s10
.LBB10_16:                              ;   in Loop: Header=BB10_17 Depth=1
	s_or_b32 exec_lo, exec_lo, s7
	v_add_nc_u32_e32 v5, 1, v5
	s_xor_b32 s1, s1, -1
	v_cmp_ge_i32_e32 vcc_lo, v5, v4
	s_or_b32 s1, s1, vcc_lo
	s_and_b32 s1, exec_lo, s1
	s_or_b32 s6, s1, s6
	s_andn2_b32 exec_lo, exec_lo, s6
	s_cbranch_execz .LBB10_34
.LBB10_17:                              ; =>This Loop Header: Depth=1
                                        ;     Child Loop BB10_18 Depth 2
                                        ;     Child Loop BB10_24 Depth 2
                                        ;       Child Loop BB10_27 Depth 3
	v_ashrrev_i32_e32 v6, 31, v5
	s_mov_b32 s1, 0
	v_lshlrev_b64 v[6:7], 2, v[5:6]
	v_add_co_u32 v8, vcc_lo, s18, v6
	s_waitcnt lgkmcnt(0)
	v_add_co_ci_u32_e64 v9, null, s19, v7, vcc_lo
	v_add_co_u32 v6, vcc_lo, s20, v6
	v_add_co_ci_u32_e64 v7, null, s21, v7, vcc_lo
	global_load_dword v8, v[8:9], off
	s_waitcnt vmcnt(0)
	v_subrev_nc_u32_e32 v8, s2, v8
	v_ashrrev_i32_e32 v9, 31, v8
	v_lshlrev_b64 v[8:9], 2, v[8:9]
	v_add_co_u32 v10, vcc_lo, s16, v8
	v_add_co_ci_u32_e64 v11, null, s17, v9, vcc_lo
	v_add_co_u32 v25, vcc_lo, s22, v8
	v_add_co_ci_u32_e64 v26, null, s23, v9, vcc_lo
	global_load_dword v24, v[6:7], off
	global_load_dword v10, v[10:11], off
	;; [unrolled: 1-line block ×3, first 2 shown]
	v_add_co_u32 v8, vcc_lo, s8, v8
	v_add_co_ci_u32_e64 v9, null, s9, v9, vcc_lo
.LBB10_18:                              ;   Parent Loop BB10_17 Depth=1
                                        ; =>  This Inner Loop Header: Depth=2
	global_load_dword v25, v[8:9], off glc dlc
	s_waitcnt vmcnt(0)
	v_cmp_ne_u32_e32 vcc_lo, 0, v25
	s_or_b32 s1, vcc_lo, s1
	s_andn2_b32 exec_lo, exec_lo, s1
	s_cbranch_execnz .LBB10_18
; %bb.19:                               ;   in Loop: Header=BB10_17 Depth=1
	s_or_b32 exec_lo, exec_lo, s1
	v_cmp_eq_u32_e32 vcc_lo, -1, v11
	buffer_gl1_inv
	buffer_gl0_inv
	v_cndmask_b32_e32 v8, v11, v16, vcc_lo
	v_ashrrev_i32_e32 v9, 31, v8
	v_lshlrev_b64 v[25:26], 2, v[8:9]
	v_add_co_u32 v25, vcc_lo, s20, v25
	v_add_co_ci_u32_e64 v26, null, s21, v26, vcc_lo
	global_load_dword v25, v[25:26], off
	s_waitcnt vmcnt(0)
	v_cmp_neq_f32_e64 s1, 0, v25
	s_and_saveexec_b32 s7, s1
	s_cbranch_execz .LBB10_16
; %bb.20:                               ;   in Loop: Header=BB10_17 Depth=1
	v_add_nc_u32_e32 v9, v17, v10
	v_mov_b32_e32 v26, 0
	s_mov_b32 s10, exec_lo
	v_cmpx_lt_i32_e64 v9, v8
	s_cbranch_execz .LBB10_32
; %bb.21:                               ;   in Loop: Header=BB10_17 Depth=1
	v_mov_b32_e32 v26, 0
	s_mov_b32 s11, 0
	s_branch .LBB10_24
.LBB10_22:                              ;   in Loop: Header=BB10_24 Depth=2
	s_or_b32 exec_lo, exec_lo, s25
.LBB10_23:                              ;   in Loop: Header=BB10_24 Depth=2
	s_or_b32 exec_lo, exec_lo, s24
	v_add_nc_u32_e32 v9, 64, v9
	v_cmp_ge_i32_e32 vcc_lo, v9, v8
	s_or_b32 s11, vcc_lo, s11
	s_andn2_b32 exec_lo, exec_lo, s11
	s_cbranch_execz .LBB10_31
.LBB10_24:                              ;   Parent Loop BB10_17 Depth=1
                                        ; =>  This Loop Header: Depth=2
                                        ;       Child Loop BB10_27 Depth 3
	v_ashrrev_i32_e32 v10, 31, v9
	s_mov_b32 s24, exec_lo
	v_lshlrev_b64 v[10:11], 2, v[9:10]
	v_add_co_u32 v27, vcc_lo, s18, v10
	v_add_co_ci_u32_e64 v28, null, s19, v11, vcc_lo
	global_load_dword v27, v[27:28], off
	s_waitcnt vmcnt(0)
	v_mul_lo_u32 v28, 0x67, v27
	v_and_b32_e32 v30, 0x1ff, v28
	v_lshl_add_u32 v28, v30, 2, v13
	ds_read_b32 v29, v28
	s_waitcnt lgkmcnt(0)
	v_cmpx_ne_u32_e32 -1, v29
	s_cbranch_execz .LBB10_23
; %bb.25:                               ;   in Loop: Header=BB10_24 Depth=2
	s_mov_b32 s25, 0
                                        ; implicit-def: $sgpr26
                                        ; implicit-def: $sgpr28
                                        ; implicit-def: $sgpr27
	s_inst_prefetch 0x1
	s_branch .LBB10_27
	.p2align	6
.LBB10_26:                              ;   in Loop: Header=BB10_27 Depth=3
	s_or_b32 exec_lo, exec_lo, s29
	s_and_b32 s29, exec_lo, s28
	s_or_b32 s25, s29, s25
	s_andn2_b32 s26, s26, exec_lo
	s_and_b32 s29, s27, exec_lo
	s_or_b32 s26, s26, s29
	s_andn2_b32 exec_lo, exec_lo, s25
	s_cbranch_execz .LBB10_29
.LBB10_27:                              ;   Parent Loop BB10_17 Depth=1
                                        ;     Parent Loop BB10_24 Depth=2
                                        ; =>    This Inner Loop Header: Depth=3
	v_mov_b32_e32 v28, v30
	v_cmp_ne_u32_e32 vcc_lo, v29, v27
	s_or_b32 s27, s27, exec_lo
	s_or_b32 s28, s28, exec_lo
                                        ; implicit-def: $vgpr30
                                        ; implicit-def: $vgpr29
	s_and_saveexec_b32 s29, vcc_lo
	s_cbranch_execz .LBB10_26
; %bb.28:                               ;   in Loop: Header=BB10_27 Depth=3
	v_add_nc_u32_e32 v29, 1, v28
	s_andn2_b32 s28, s28, exec_lo
	s_andn2_b32 s27, s27, exec_lo
	v_and_b32_e32 v30, 0x1ff, v29
	v_lshl_add_u32 v29, v30, 2, v13
	ds_read_b32 v29, v29
	s_waitcnt lgkmcnt(0)
	v_cmp_eq_u32_e32 vcc_lo, -1, v29
	s_and_b32 s30, vcc_lo, exec_lo
	s_or_b32 s28, s28, s30
	s_branch .LBB10_26
.LBB10_29:                              ;   in Loop: Header=BB10_24 Depth=2
	s_inst_prefetch 0x2
	s_or_b32 exec_lo, exec_lo, s25
	s_and_saveexec_b32 s25, s26
	s_xor_b32 s25, exec_lo, s25
	s_cbranch_execz .LBB10_22
; %bb.30:                               ;   in Loop: Header=BB10_24 Depth=2
	v_lshl_add_u32 v27, v28, 2, v0
	v_add_co_u32 v10, vcc_lo, s20, v10
	v_add_co_ci_u32_e64 v11, null, s21, v11, vcc_lo
	ds_read_b32 v27, v27
	s_waitcnt lgkmcnt(0)
	v_ashrrev_i32_e32 v28, 31, v27
	v_lshlrev_b64 v[27:28], 2, v[27:28]
	v_add_co_u32 v27, vcc_lo, s20, v27
	v_add_co_ci_u32_e64 v28, null, s21, v28, vcc_lo
	s_clause 0x1
	global_load_dword v10, v[10:11], off
	global_load_dword v11, v[27:28], off
	s_waitcnt vmcnt(0)
	v_fmac_f32_e32 v26, v10, v11
	s_branch .LBB10_22
.LBB10_31:                              ;   in Loop: Header=BB10_17 Depth=1
	s_or_b32 exec_lo, exec_lo, s11
.LBB10_32:                              ;   in Loop: Header=BB10_17 Depth=1
	s_or_b32 exec_lo, exec_lo, s10
	v_cmp_gt_i32_e32 vcc_lo, 32, v18
	v_cndmask_b32_e32 v8, v15, v18, vcc_lo
	v_cmp_gt_i32_e32 vcc_lo, 32, v19
	v_lshlrev_b32_e32 v8, 2, v8
	v_cndmask_b32_e32 v9, v15, v19, vcc_lo
	v_cmp_gt_i32_e32 vcc_lo, 32, v20
	ds_bpermute_b32 v8, v8, v26
	v_lshlrev_b32_e32 v9, 2, v9
	v_cndmask_b32_e32 v10, v15, v20, vcc_lo
	v_cmp_gt_i32_e32 vcc_lo, 32, v21
	v_lshlrev_b32_e32 v10, 2, v10
	s_waitcnt lgkmcnt(0)
	v_add_f32_e32 v8, v26, v8
	ds_bpermute_b32 v9, v9, v8
	s_waitcnt lgkmcnt(0)
	v_add_f32_e32 v8, v8, v9
	ds_bpermute_b32 v9, v10, v8
	v_cndmask_b32_e32 v10, v15, v21, vcc_lo
	v_cmp_gt_i32_e32 vcc_lo, 32, v22
	v_lshlrev_b32_e32 v10, 2, v10
	s_waitcnt lgkmcnt(0)
	v_add_f32_e32 v8, v8, v9
	ds_bpermute_b32 v9, v10, v8
	v_cndmask_b32_e32 v10, v15, v22, vcc_lo
	v_cmp_gt_i32_e32 vcc_lo, 32, v23
	v_lshlrev_b32_e32 v10, 2, v10
	s_waitcnt lgkmcnt(0)
	v_add_f32_e32 v8, v8, v9
	ds_bpermute_b32 v9, v10, v8
	v_cndmask_b32_e32 v10, v15, v23, vcc_lo
	s_waitcnt lgkmcnt(0)
	v_add_f32_e32 v8, v8, v9
	v_lshlrev_b32_e32 v9, 2, v10
	ds_bpermute_b32 v9, v9, v8
	s_and_saveexec_b32 s10, s0
	s_cbranch_execz .LBB10_15
; %bb.33:                               ;   in Loop: Header=BB10_17 Depth=1
	v_div_scale_f32 v10, null, v25, v25, 1.0
	v_div_scale_f32 v27, vcc_lo, 1.0, v25, 1.0
	s_waitcnt lgkmcnt(0)
	v_add_f32_e32 v8, v8, v9
	v_rcp_f32_e32 v11, v10
	v_sub_f32_e32 v8, v24, v8
	v_fma_f32 v26, -v10, v11, 1.0
	v_fmac_f32_e32 v11, v26, v11
	v_mul_f32_e32 v26, v27, v11
	v_fma_f32 v28, -v10, v26, v27
	v_fmac_f32_e32 v26, v28, v11
	v_fma_f32 v10, -v10, v26, v27
	v_div_fmas_f32 v10, v10, v11, v26
	v_div_fixup_f32 v9, v10, v25, 1.0
	v_mul_f32_e32 v8, v9, v8
	v_fmac_f32_e32 v14, v8, v8
	global_store_dword v[6:7], v8, off
	s_branch .LBB10_15
.LBB10_34:
	s_or_b32 exec_lo, exec_lo, s6
.LBB10_35:
	s_or_b32 exec_lo, exec_lo, s3
	v_cmp_eq_u32_e32 vcc_lo, 63, v12
	v_cmp_lt_i32_e64 s0, -1, v4
	s_and_b32 s0, vcc_lo, s0
	s_and_saveexec_b32 s3, s0
	s_cbranch_execz .LBB10_46
; %bb.36:
	v_mov_b32_e32 v5, 0
	v_lshlrev_b64 v[4:5], 2, v[4:5]
	v_add_co_u32 v4, s0, s20, v4
	v_add_co_ci_u32_e64 v5, null, s21, v5, s0
	s_load_dwordx2 s[0:1], s[4:5], 0x48
	global_load_dword v0, v[4:5], off
	s_waitcnt lgkmcnt(0)
	v_mul_f64 v[7:8], s[0:1], s[0:1]
	s_mov_b32 s1, exec_lo
	s_waitcnt vmcnt(0)
	v_sub_f32_e32 v6, v0, v14
	v_add_nc_u32_e32 v0, s2, v3
	v_cvt_f64_f32_e32 v[9:10], v6
	v_cmpx_ge_f64_e32 v[7:8], v[9:10]
	s_cbranch_execz .LBB10_41
; %bb.37:
	s_mov_b32 s0, exec_lo
	s_brev_b32 s2, -2
.LBB10_38:                              ; =>This Inner Loop Header: Depth=1
	s_ff1_i32_b32 s4, s0
	v_readlane_b32 s5, v0, s4
	s_lshl_b32 s4, 1, s4
	s_andn2_b32 s0, s0, s4
	s_min_i32 s2, s2, s5
	s_cmp_lg_u32 s0, 0
	s_cbranch_scc1 .LBB10_38
; %bb.39:
	v_mbcnt_lo_u32_b32 v3, exec_lo, 0
	s_mov_b32 s4, exec_lo
	v_cmpx_eq_u32_e32 0, v3
	s_xor_b32 s4, exec_lo, s4
	s_cbranch_execz .LBB10_41
; %bb.40:
	v_mov_b32_e32 v3, 0
	v_mov_b32_e32 v7, s2
	global_atomic_smin v3, v7, s[14:15]
.LBB10_41:
	s_or_b32 exec_lo, exec_lo, s1
	v_cmp_gt_f32_e64 s0, 0, v6
	v_cndmask_b32_e64 v3, v6, -v6, s0
	v_mul_f32_e32 v7, 0x4f800000, v3
	v_cmp_gt_f32_e64 s0, 0xf800000, v3
	v_cndmask_b32_e64 v3, v3, v7, s0
	v_sqrt_f32_e32 v7, v3
	v_add_nc_u32_e32 v8, -1, v7
	v_add_nc_u32_e32 v9, 1, v7
	v_fma_f32 v10, -v8, v7, v3
	v_fma_f32 v11, -v9, v7, v3
	v_cmp_ge_f32_e64 s1, 0, v10
	v_cndmask_b32_e64 v7, v7, v8, s1
	v_cmp_lt_f32_e64 s1, 0, v11
	v_cndmask_b32_e64 v7, v7, v9, s1
	v_mul_f32_e32 v8, 0x37800000, v7
	v_cndmask_b32_e64 v7, v7, v8, s0
	v_cmp_class_f32_e64 s0, v3, 0x260
	v_cndmask_b32_e64 v3, v7, v3, s0
	v_cmp_eq_f32_e64 s0, 0, v6
	global_store_dword v[4:5], v3, off
	s_and_b32 exec_lo, exec_lo, s0
	s_cbranch_execz .LBB10_46
; %bb.42:
	s_mov_b32 s0, exec_lo
	s_brev_b32 s1, -2
.LBB10_43:                              ; =>This Inner Loop Header: Depth=1
	s_ff1_i32_b32 s2, s0
	v_readlane_b32 s4, v0, s2
	s_lshl_b32 s2, 1, s2
	s_andn2_b32 s0, s0, s2
	s_min_i32 s1, s1, s4
	s_cmp_lg_u32 s0, 0
	s_cbranch_scc1 .LBB10_43
; %bb.44:
	v_mbcnt_lo_u32_b32 v0, exec_lo, 0
	s_mov_b32 s2, exec_lo
	v_cmpx_eq_u32_e32 0, v0
	s_xor_b32 s2, exec_lo, s2
	s_cbranch_execz .LBB10_46
; %bb.45:
	v_mov_b32_e32 v0, 0
	v_mov_b32_e32 v3, s1
	global_atomic_smin v0, v3, s[12:13]
.LBB10_46:
	s_or_b32 exec_lo, exec_lo, s3
	s_and_b32 exec_lo, exec_lo, vcc_lo
	s_cbranch_execz .LBB10_48
; %bb.47:
	v_add_co_u32 v0, vcc_lo, s8, v1
	v_add_co_ci_u32_e64 v1, null, s9, v2, vcc_lo
	v_mov_b32_e32 v2, 1
	s_waitcnt lgkmcnt(0)
	s_waitcnt_vscnt null, 0x0
	global_store_dword v[0:1], v2, off
.LBB10_48:
	s_endpgm
	.section	.rodata,"a",@progbits
	.p2align	6, 0x0
	.amdhsa_kernel _ZN9rocsparseL18csric0_hash_kernelILj256ELj64ELj8EfEEviPKiS2_PT2_S2_PiS2_S5_S5_d21rocsparse_index_base_
		.amdhsa_group_segment_fixed_size 16384
		.amdhsa_private_segment_fixed_size 0
		.amdhsa_kernarg_size 84
		.amdhsa_user_sgpr_count 6
		.amdhsa_user_sgpr_private_segment_buffer 1
		.amdhsa_user_sgpr_dispatch_ptr 0
		.amdhsa_user_sgpr_queue_ptr 0
		.amdhsa_user_sgpr_kernarg_segment_ptr 1
		.amdhsa_user_sgpr_dispatch_id 0
		.amdhsa_user_sgpr_flat_scratch_init 0
		.amdhsa_user_sgpr_private_segment_size 0
		.amdhsa_wavefront_size32 1
		.amdhsa_uses_dynamic_stack 0
		.amdhsa_system_sgpr_private_segment_wavefront_offset 0
		.amdhsa_system_sgpr_workgroup_id_x 1
		.amdhsa_system_sgpr_workgroup_id_y 0
		.amdhsa_system_sgpr_workgroup_id_z 0
		.amdhsa_system_sgpr_workgroup_info 0
		.amdhsa_system_vgpr_workitem_id 0
		.amdhsa_next_free_vgpr 31
		.amdhsa_next_free_sgpr 31
		.amdhsa_reserve_vcc 1
		.amdhsa_reserve_flat_scratch 0
		.amdhsa_float_round_mode_32 0
		.amdhsa_float_round_mode_16_64 0
		.amdhsa_float_denorm_mode_32 3
		.amdhsa_float_denorm_mode_16_64 3
		.amdhsa_dx10_clamp 1
		.amdhsa_ieee_mode 1
		.amdhsa_fp16_overflow 0
		.amdhsa_workgroup_processor_mode 1
		.amdhsa_memory_ordered 1
		.amdhsa_forward_progress 1
		.amdhsa_shared_vgpr_count 0
		.amdhsa_exception_fp_ieee_invalid_op 0
		.amdhsa_exception_fp_denorm_src 0
		.amdhsa_exception_fp_ieee_div_zero 0
		.amdhsa_exception_fp_ieee_overflow 0
		.amdhsa_exception_fp_ieee_underflow 0
		.amdhsa_exception_fp_ieee_inexact 0
		.amdhsa_exception_int_div_zero 0
	.end_amdhsa_kernel
	.section	.text._ZN9rocsparseL18csric0_hash_kernelILj256ELj64ELj8EfEEviPKiS2_PT2_S2_PiS2_S5_S5_d21rocsparse_index_base_,"axG",@progbits,_ZN9rocsparseL18csric0_hash_kernelILj256ELj64ELj8EfEEviPKiS2_PT2_S2_PiS2_S5_S5_d21rocsparse_index_base_,comdat
.Lfunc_end10:
	.size	_ZN9rocsparseL18csric0_hash_kernelILj256ELj64ELj8EfEEviPKiS2_PT2_S2_PiS2_S5_S5_d21rocsparse_index_base_, .Lfunc_end10-_ZN9rocsparseL18csric0_hash_kernelILj256ELj64ELj8EfEEviPKiS2_PT2_S2_PiS2_S5_S5_d21rocsparse_index_base_
                                        ; -- End function
	.set _ZN9rocsparseL18csric0_hash_kernelILj256ELj64ELj8EfEEviPKiS2_PT2_S2_PiS2_S5_S5_d21rocsparse_index_base_.num_vgpr, 31
	.set _ZN9rocsparseL18csric0_hash_kernelILj256ELj64ELj8EfEEviPKiS2_PT2_S2_PiS2_S5_S5_d21rocsparse_index_base_.num_agpr, 0
	.set _ZN9rocsparseL18csric0_hash_kernelILj256ELj64ELj8EfEEviPKiS2_PT2_S2_PiS2_S5_S5_d21rocsparse_index_base_.numbered_sgpr, 31
	.set _ZN9rocsparseL18csric0_hash_kernelILj256ELj64ELj8EfEEviPKiS2_PT2_S2_PiS2_S5_S5_d21rocsparse_index_base_.num_named_barrier, 0
	.set _ZN9rocsparseL18csric0_hash_kernelILj256ELj64ELj8EfEEviPKiS2_PT2_S2_PiS2_S5_S5_d21rocsparse_index_base_.private_seg_size, 0
	.set _ZN9rocsparseL18csric0_hash_kernelILj256ELj64ELj8EfEEviPKiS2_PT2_S2_PiS2_S5_S5_d21rocsparse_index_base_.uses_vcc, 1
	.set _ZN9rocsparseL18csric0_hash_kernelILj256ELj64ELj8EfEEviPKiS2_PT2_S2_PiS2_S5_S5_d21rocsparse_index_base_.uses_flat_scratch, 0
	.set _ZN9rocsparseL18csric0_hash_kernelILj256ELj64ELj8EfEEviPKiS2_PT2_S2_PiS2_S5_S5_d21rocsparse_index_base_.has_dyn_sized_stack, 0
	.set _ZN9rocsparseL18csric0_hash_kernelILj256ELj64ELj8EfEEviPKiS2_PT2_S2_PiS2_S5_S5_d21rocsparse_index_base_.has_recursion, 0
	.set _ZN9rocsparseL18csric0_hash_kernelILj256ELj64ELj8EfEEviPKiS2_PT2_S2_PiS2_S5_S5_d21rocsparse_index_base_.has_indirect_call, 0
	.section	.AMDGPU.csdata,"",@progbits
; Kernel info:
; codeLenInByte = 2220
; TotalNumSgprs: 33
; NumVgprs: 31
; ScratchSize: 0
; MemoryBound: 0
; FloatMode: 240
; IeeeMode: 1
; LDSByteSize: 16384 bytes/workgroup (compile time only)
; SGPRBlocks: 0
; VGPRBlocks: 3
; NumSGPRsForWavesPerEU: 33
; NumVGPRsForWavesPerEU: 31
; Occupancy: 16
; WaveLimiterHint : 1
; COMPUTE_PGM_RSRC2:SCRATCH_EN: 0
; COMPUTE_PGM_RSRC2:USER_SGPR: 6
; COMPUTE_PGM_RSRC2:TRAP_HANDLER: 0
; COMPUTE_PGM_RSRC2:TGID_X_EN: 1
; COMPUTE_PGM_RSRC2:TGID_Y_EN: 0
; COMPUTE_PGM_RSRC2:TGID_Z_EN: 0
; COMPUTE_PGM_RSRC2:TIDIG_COMP_CNT: 0
	.section	.text._ZN9rocsparseL18csric0_hash_kernelILj256ELj64ELj16EfEEviPKiS2_PT2_S2_PiS2_S5_S5_d21rocsparse_index_base_,"axG",@progbits,_ZN9rocsparseL18csric0_hash_kernelILj256ELj64ELj16EfEEviPKiS2_PT2_S2_PiS2_S5_S5_d21rocsparse_index_base_,comdat
	.globl	_ZN9rocsparseL18csric0_hash_kernelILj256ELj64ELj16EfEEviPKiS2_PT2_S2_PiS2_S5_S5_d21rocsparse_index_base_ ; -- Begin function _ZN9rocsparseL18csric0_hash_kernelILj256ELj64ELj16EfEEviPKiS2_PT2_S2_PiS2_S5_S5_d21rocsparse_index_base_
	.p2align	8
	.type	_ZN9rocsparseL18csric0_hash_kernelILj256ELj64ELj16EfEEviPKiS2_PT2_S2_PiS2_S5_S5_d21rocsparse_index_base_,@function
_ZN9rocsparseL18csric0_hash_kernelILj256ELj64ELj16EfEEviPKiS2_PT2_S2_PiS2_S5_S5_d21rocsparse_index_base_: ; @_ZN9rocsparseL18csric0_hash_kernelILj256ELj64ELj16EfEEviPKiS2_PT2_S2_PiS2_S5_S5_d21rocsparse_index_base_
; %bb.0:
	s_clause 0x1
	s_load_dwordx8 s[16:23], s[4:5], 0x8
	s_load_dwordx8 s[8:15], s[4:5], 0x28
	v_lshrrev_b32_e32 v1, 6, v0
	v_and_b32_e32 v12, 63, v0
	s_mov_b32 s0, 0
	v_lshlrev_b32_e32 v3, 12, v1
	v_lshlrev_b32_e32 v4, 2, v12
	v_or_b32_e32 v2, 0xffffffc0, v12
	v_or3_b32 v3, v3, v4, 0x4000
	v_mov_b32_e32 v4, -1
.LBB11_1:                               ; =>This Inner Loop Header: Depth=1
	v_add_nc_u32_e32 v2, 64, v2
	ds_write_b32 v3, v4
	v_add_nc_u32_e32 v3, 0x100, v3
	v_cmp_lt_u32_e32 vcc_lo, 0x3bf, v2
	s_or_b32 s0, vcc_lo, s0
	s_andn2_b32 exec_lo, exec_lo, s0
	s_cbranch_execnz .LBB11_1
; %bb.2:
	s_or_b32 exec_lo, exec_lo, s0
	s_load_dword s0, s[4:5], 0x0
	s_lshl_b32 s1, s6, 2
	s_waitcnt lgkmcnt(0)
	buffer_gl0_inv
	v_and_or_b32 v1, 0x3fffffc, s1, v1
	v_cmp_gt_i32_e32 vcc_lo, s0, v1
	s_and_saveexec_b32 s0, vcc_lo
	s_cbranch_execz .LBB11_48
; %bb.3:
	v_lshlrev_b32_e32 v1, 2, v1
	s_load_dword s2, s[4:5], 0x50
	v_lshlrev_b32_e32 v0, 6, v0
	s_mov_b32 s0, exec_lo
	global_load_dword v3, v1, s[10:11]
	v_and_b32_e32 v0, 0x3000, v0
	v_or_b32_e32 v13, 0x4000, v0
	s_waitcnt vmcnt(0)
	v_ashrrev_i32_e32 v4, 31, v3
	v_lshlrev_b64 v[1:2], 2, v[3:4]
	v_add_co_u32 v4, vcc_lo, s16, v1
	v_add_co_ci_u32_e64 v5, null, s17, v2, vcc_lo
	v_add_co_u32 v7, vcc_lo, s22, v1
	v_add_co_ci_u32_e64 v8, null, s23, v2, vcc_lo
	global_load_dwordx2 v[5:6], v[4:5], off
	global_load_dword v4, v[7:8], off
	s_waitcnt vmcnt(1) lgkmcnt(0)
	v_subrev_nc_u32_e32 v5, s2, v5
	v_subrev_nc_u32_e32 v8, s2, v6
	v_add_nc_u32_e32 v6, v5, v12
	v_cmpx_lt_i32_e64 v6, v8
	s_cbranch_execz .LBB11_13
; %bb.4:
	v_mov_b32_e32 v9, -1
	s_mov_b32 s1, 0
	s_branch .LBB11_6
.LBB11_5:                               ;   in Loop: Header=BB11_6 Depth=1
	s_or_b32 exec_lo, exec_lo, s3
	v_add_nc_u32_e32 v6, 64, v6
	v_cmp_ge_i32_e32 vcc_lo, v6, v8
	s_or_b32 s1, vcc_lo, s1
	s_andn2_b32 exec_lo, exec_lo, s1
	s_cbranch_execz .LBB11_13
.LBB11_6:                               ; =>This Loop Header: Depth=1
                                        ;     Child Loop BB11_9 Depth 2
	v_ashrrev_i32_e32 v7, 31, v6
	s_mov_b32 s3, exec_lo
	v_lshlrev_b64 v[10:11], 2, v[6:7]
	v_add_co_u32 v10, vcc_lo, s18, v10
	v_add_co_ci_u32_e64 v11, null, s19, v11, vcc_lo
	global_load_dword v7, v[10:11], off
	s_waitcnt vmcnt(0)
	v_mul_lo_u32 v10, 0x67, v7
	v_and_b32_e32 v10, 0x3ff, v10
	v_lshl_add_u32 v11, v10, 2, v13
	ds_read_b32 v14, v11
	s_waitcnt lgkmcnt(0)
	v_cmpx_ne_u32_e64 v14, v7
	s_cbranch_execz .LBB11_5
; %bb.7:                                ;   in Loop: Header=BB11_6 Depth=1
	s_mov_b32 s6, 0
                                        ; implicit-def: $sgpr7
                                        ; implicit-def: $sgpr11
                                        ; implicit-def: $sgpr10
	s_inst_prefetch 0x1
	s_branch .LBB11_9
	.p2align	6
.LBB11_8:                               ;   in Loop: Header=BB11_9 Depth=2
	s_or_b32 exec_lo, exec_lo, s24
	s_and_b32 s24, exec_lo, s11
	s_or_b32 s6, s24, s6
	s_andn2_b32 s7, s7, exec_lo
	s_and_b32 s24, s10, exec_lo
	s_or_b32 s7, s7, s24
	s_andn2_b32 exec_lo, exec_lo, s6
	s_cbranch_execz .LBB11_11
.LBB11_9:                               ;   Parent Loop BB11_6 Depth=1
                                        ; =>  This Inner Loop Header: Depth=2
	ds_cmpst_rtn_b32 v11, v11, v9, v7
	v_mov_b32_e32 v14, v10
	s_or_b32 s10, s10, exec_lo
	s_or_b32 s11, s11, exec_lo
                                        ; implicit-def: $vgpr10
	s_waitcnt lgkmcnt(0)
	v_cmp_ne_u32_e32 vcc_lo, -1, v11
                                        ; implicit-def: $vgpr11
	s_and_saveexec_b32 s24, vcc_lo
	s_cbranch_execz .LBB11_8
; %bb.10:                               ;   in Loop: Header=BB11_9 Depth=2
	v_add_nc_u32_e32 v10, 1, v14
	s_andn2_b32 s11, s11, exec_lo
	s_andn2_b32 s10, s10, exec_lo
	v_and_b32_e32 v10, 0x3ff, v10
	v_lshl_add_u32 v11, v10, 2, v13
	ds_read_b32 v15, v11
	s_waitcnt lgkmcnt(0)
	v_cmp_eq_u32_e32 vcc_lo, v15, v7
	s_and_b32 s25, vcc_lo, exec_lo
	s_or_b32 s11, s11, s25
	s_branch .LBB11_8
.LBB11_11:                              ;   in Loop: Header=BB11_6 Depth=1
	s_inst_prefetch 0x2
	s_or_b32 exec_lo, exec_lo, s6
	s_and_saveexec_b32 s6, s7
	s_xor_b32 s6, exec_lo, s6
	s_cbranch_execz .LBB11_5
; %bb.12:                               ;   in Loop: Header=BB11_6 Depth=1
	v_lshl_add_u32 v7, v14, 2, v0
	ds_write_b32 v7, v6
	s_branch .LBB11_5
.LBB11_13:
	s_or_b32 exec_lo, exec_lo, s0
	v_mov_b32_e32 v14, 0
	s_mov_b32 s3, exec_lo
	s_waitcnt vmcnt(0) lgkmcnt(0)
	buffer_gl0_inv
	v_cmpx_lt_i32_e64 v5, v4
	s_cbranch_execz .LBB11_35
; %bb.14:
	v_mbcnt_lo_u32_b32 v15, -1, 0
	v_add_nc_u32_e32 v16, -1, v4
	v_subrev_nc_u32_e32 v17, s2, v12
	v_cmp_eq_u32_e64 s0, 63, v12
	v_mov_b32_e32 v14, 0
	v_or_b32_e32 v18, 32, v15
	v_xor_b32_e32 v19, 16, v15
	v_xor_b32_e32 v20, 8, v15
	;; [unrolled: 1-line block ×5, first 2 shown]
	s_mov_b32 s6, 0
	s_branch .LBB11_17
.LBB11_15:                              ;   in Loop: Header=BB11_17 Depth=1
	s_or_b32 exec_lo, exec_lo, s10
.LBB11_16:                              ;   in Loop: Header=BB11_17 Depth=1
	s_or_b32 exec_lo, exec_lo, s7
	v_add_nc_u32_e32 v5, 1, v5
	s_xor_b32 s1, s1, -1
	v_cmp_ge_i32_e32 vcc_lo, v5, v4
	s_or_b32 s1, s1, vcc_lo
	s_and_b32 s1, exec_lo, s1
	s_or_b32 s6, s1, s6
	s_andn2_b32 exec_lo, exec_lo, s6
	s_cbranch_execz .LBB11_34
.LBB11_17:                              ; =>This Loop Header: Depth=1
                                        ;     Child Loop BB11_18 Depth 2
                                        ;     Child Loop BB11_24 Depth 2
                                        ;       Child Loop BB11_27 Depth 3
	v_ashrrev_i32_e32 v6, 31, v5
	s_mov_b32 s1, 0
	v_lshlrev_b64 v[6:7], 2, v[5:6]
	v_add_co_u32 v8, vcc_lo, s18, v6
	s_waitcnt lgkmcnt(0)
	v_add_co_ci_u32_e64 v9, null, s19, v7, vcc_lo
	v_add_co_u32 v6, vcc_lo, s20, v6
	v_add_co_ci_u32_e64 v7, null, s21, v7, vcc_lo
	global_load_dword v8, v[8:9], off
	s_waitcnt vmcnt(0)
	v_subrev_nc_u32_e32 v8, s2, v8
	v_ashrrev_i32_e32 v9, 31, v8
	v_lshlrev_b64 v[8:9], 2, v[8:9]
	v_add_co_u32 v10, vcc_lo, s16, v8
	v_add_co_ci_u32_e64 v11, null, s17, v9, vcc_lo
	v_add_co_u32 v25, vcc_lo, s22, v8
	v_add_co_ci_u32_e64 v26, null, s23, v9, vcc_lo
	global_load_dword v24, v[6:7], off
	global_load_dword v10, v[10:11], off
	;; [unrolled: 1-line block ×3, first 2 shown]
	v_add_co_u32 v8, vcc_lo, s8, v8
	v_add_co_ci_u32_e64 v9, null, s9, v9, vcc_lo
.LBB11_18:                              ;   Parent Loop BB11_17 Depth=1
                                        ; =>  This Inner Loop Header: Depth=2
	global_load_dword v25, v[8:9], off glc dlc
	s_waitcnt vmcnt(0)
	v_cmp_ne_u32_e32 vcc_lo, 0, v25
	s_or_b32 s1, vcc_lo, s1
	s_andn2_b32 exec_lo, exec_lo, s1
	s_cbranch_execnz .LBB11_18
; %bb.19:                               ;   in Loop: Header=BB11_17 Depth=1
	s_or_b32 exec_lo, exec_lo, s1
	v_cmp_eq_u32_e32 vcc_lo, -1, v11
	buffer_gl1_inv
	buffer_gl0_inv
	v_cndmask_b32_e32 v8, v11, v16, vcc_lo
	v_ashrrev_i32_e32 v9, 31, v8
	v_lshlrev_b64 v[25:26], 2, v[8:9]
	v_add_co_u32 v25, vcc_lo, s20, v25
	v_add_co_ci_u32_e64 v26, null, s21, v26, vcc_lo
	global_load_dword v25, v[25:26], off
	s_waitcnt vmcnt(0)
	v_cmp_neq_f32_e64 s1, 0, v25
	s_and_saveexec_b32 s7, s1
	s_cbranch_execz .LBB11_16
; %bb.20:                               ;   in Loop: Header=BB11_17 Depth=1
	v_add_nc_u32_e32 v9, v17, v10
	v_mov_b32_e32 v26, 0
	s_mov_b32 s10, exec_lo
	v_cmpx_lt_i32_e64 v9, v8
	s_cbranch_execz .LBB11_32
; %bb.21:                               ;   in Loop: Header=BB11_17 Depth=1
	v_mov_b32_e32 v26, 0
	s_mov_b32 s11, 0
	s_branch .LBB11_24
.LBB11_22:                              ;   in Loop: Header=BB11_24 Depth=2
	s_or_b32 exec_lo, exec_lo, s25
.LBB11_23:                              ;   in Loop: Header=BB11_24 Depth=2
	s_or_b32 exec_lo, exec_lo, s24
	v_add_nc_u32_e32 v9, 64, v9
	v_cmp_ge_i32_e32 vcc_lo, v9, v8
	s_or_b32 s11, vcc_lo, s11
	s_andn2_b32 exec_lo, exec_lo, s11
	s_cbranch_execz .LBB11_31
.LBB11_24:                              ;   Parent Loop BB11_17 Depth=1
                                        ; =>  This Loop Header: Depth=2
                                        ;       Child Loop BB11_27 Depth 3
	v_ashrrev_i32_e32 v10, 31, v9
	s_mov_b32 s24, exec_lo
	v_lshlrev_b64 v[10:11], 2, v[9:10]
	v_add_co_u32 v27, vcc_lo, s18, v10
	v_add_co_ci_u32_e64 v28, null, s19, v11, vcc_lo
	global_load_dword v27, v[27:28], off
	s_waitcnt vmcnt(0)
	v_mul_lo_u32 v28, 0x67, v27
	v_and_b32_e32 v30, 0x3ff, v28
	v_lshl_add_u32 v28, v30, 2, v13
	ds_read_b32 v29, v28
	s_waitcnt lgkmcnt(0)
	v_cmpx_ne_u32_e32 -1, v29
	s_cbranch_execz .LBB11_23
; %bb.25:                               ;   in Loop: Header=BB11_24 Depth=2
	s_mov_b32 s25, 0
                                        ; implicit-def: $sgpr26
                                        ; implicit-def: $sgpr28
                                        ; implicit-def: $sgpr27
	s_inst_prefetch 0x1
	s_branch .LBB11_27
	.p2align	6
.LBB11_26:                              ;   in Loop: Header=BB11_27 Depth=3
	s_or_b32 exec_lo, exec_lo, s29
	s_and_b32 s29, exec_lo, s28
	s_or_b32 s25, s29, s25
	s_andn2_b32 s26, s26, exec_lo
	s_and_b32 s29, s27, exec_lo
	s_or_b32 s26, s26, s29
	s_andn2_b32 exec_lo, exec_lo, s25
	s_cbranch_execz .LBB11_29
.LBB11_27:                              ;   Parent Loop BB11_17 Depth=1
                                        ;     Parent Loop BB11_24 Depth=2
                                        ; =>    This Inner Loop Header: Depth=3
	v_mov_b32_e32 v28, v30
	v_cmp_ne_u32_e32 vcc_lo, v29, v27
	s_or_b32 s27, s27, exec_lo
	s_or_b32 s28, s28, exec_lo
                                        ; implicit-def: $vgpr30
                                        ; implicit-def: $vgpr29
	s_and_saveexec_b32 s29, vcc_lo
	s_cbranch_execz .LBB11_26
; %bb.28:                               ;   in Loop: Header=BB11_27 Depth=3
	v_add_nc_u32_e32 v29, 1, v28
	s_andn2_b32 s28, s28, exec_lo
	s_andn2_b32 s27, s27, exec_lo
	v_and_b32_e32 v30, 0x3ff, v29
	v_lshl_add_u32 v29, v30, 2, v13
	ds_read_b32 v29, v29
	s_waitcnt lgkmcnt(0)
	v_cmp_eq_u32_e32 vcc_lo, -1, v29
	s_and_b32 s30, vcc_lo, exec_lo
	s_or_b32 s28, s28, s30
	s_branch .LBB11_26
.LBB11_29:                              ;   in Loop: Header=BB11_24 Depth=2
	s_inst_prefetch 0x2
	s_or_b32 exec_lo, exec_lo, s25
	s_and_saveexec_b32 s25, s26
	s_xor_b32 s25, exec_lo, s25
	s_cbranch_execz .LBB11_22
; %bb.30:                               ;   in Loop: Header=BB11_24 Depth=2
	v_lshl_add_u32 v27, v28, 2, v0
	v_add_co_u32 v10, vcc_lo, s20, v10
	v_add_co_ci_u32_e64 v11, null, s21, v11, vcc_lo
	ds_read_b32 v27, v27
	s_waitcnt lgkmcnt(0)
	v_ashrrev_i32_e32 v28, 31, v27
	v_lshlrev_b64 v[27:28], 2, v[27:28]
	v_add_co_u32 v27, vcc_lo, s20, v27
	v_add_co_ci_u32_e64 v28, null, s21, v28, vcc_lo
	s_clause 0x1
	global_load_dword v10, v[10:11], off
	global_load_dword v11, v[27:28], off
	s_waitcnt vmcnt(0)
	v_fmac_f32_e32 v26, v10, v11
	s_branch .LBB11_22
.LBB11_31:                              ;   in Loop: Header=BB11_17 Depth=1
	s_or_b32 exec_lo, exec_lo, s11
.LBB11_32:                              ;   in Loop: Header=BB11_17 Depth=1
	s_or_b32 exec_lo, exec_lo, s10
	v_cmp_gt_i32_e32 vcc_lo, 32, v18
	v_cndmask_b32_e32 v8, v15, v18, vcc_lo
	v_cmp_gt_i32_e32 vcc_lo, 32, v19
	v_lshlrev_b32_e32 v8, 2, v8
	v_cndmask_b32_e32 v9, v15, v19, vcc_lo
	v_cmp_gt_i32_e32 vcc_lo, 32, v20
	ds_bpermute_b32 v8, v8, v26
	v_lshlrev_b32_e32 v9, 2, v9
	v_cndmask_b32_e32 v10, v15, v20, vcc_lo
	v_cmp_gt_i32_e32 vcc_lo, 32, v21
	v_lshlrev_b32_e32 v10, 2, v10
	s_waitcnt lgkmcnt(0)
	v_add_f32_e32 v8, v26, v8
	ds_bpermute_b32 v9, v9, v8
	s_waitcnt lgkmcnt(0)
	v_add_f32_e32 v8, v8, v9
	ds_bpermute_b32 v9, v10, v8
	v_cndmask_b32_e32 v10, v15, v21, vcc_lo
	v_cmp_gt_i32_e32 vcc_lo, 32, v22
	v_lshlrev_b32_e32 v10, 2, v10
	s_waitcnt lgkmcnt(0)
	v_add_f32_e32 v8, v8, v9
	ds_bpermute_b32 v9, v10, v8
	v_cndmask_b32_e32 v10, v15, v22, vcc_lo
	v_cmp_gt_i32_e32 vcc_lo, 32, v23
	v_lshlrev_b32_e32 v10, 2, v10
	s_waitcnt lgkmcnt(0)
	v_add_f32_e32 v8, v8, v9
	ds_bpermute_b32 v9, v10, v8
	v_cndmask_b32_e32 v10, v15, v23, vcc_lo
	s_waitcnt lgkmcnt(0)
	v_add_f32_e32 v8, v8, v9
	v_lshlrev_b32_e32 v9, 2, v10
	ds_bpermute_b32 v9, v9, v8
	s_and_saveexec_b32 s10, s0
	s_cbranch_execz .LBB11_15
; %bb.33:                               ;   in Loop: Header=BB11_17 Depth=1
	v_div_scale_f32 v10, null, v25, v25, 1.0
	v_div_scale_f32 v27, vcc_lo, 1.0, v25, 1.0
	s_waitcnt lgkmcnt(0)
	v_add_f32_e32 v8, v8, v9
	v_rcp_f32_e32 v11, v10
	v_sub_f32_e32 v8, v24, v8
	v_fma_f32 v26, -v10, v11, 1.0
	v_fmac_f32_e32 v11, v26, v11
	v_mul_f32_e32 v26, v27, v11
	v_fma_f32 v28, -v10, v26, v27
	v_fmac_f32_e32 v26, v28, v11
	v_fma_f32 v10, -v10, v26, v27
	v_div_fmas_f32 v10, v10, v11, v26
	v_div_fixup_f32 v9, v10, v25, 1.0
	v_mul_f32_e32 v8, v9, v8
	v_fmac_f32_e32 v14, v8, v8
	global_store_dword v[6:7], v8, off
	s_branch .LBB11_15
.LBB11_34:
	s_or_b32 exec_lo, exec_lo, s6
.LBB11_35:
	s_or_b32 exec_lo, exec_lo, s3
	v_cmp_eq_u32_e32 vcc_lo, 63, v12
	v_cmp_lt_i32_e64 s0, -1, v4
	s_and_b32 s0, vcc_lo, s0
	s_and_saveexec_b32 s3, s0
	s_cbranch_execz .LBB11_46
; %bb.36:
	v_mov_b32_e32 v5, 0
	v_lshlrev_b64 v[4:5], 2, v[4:5]
	v_add_co_u32 v4, s0, s20, v4
	v_add_co_ci_u32_e64 v5, null, s21, v5, s0
	s_load_dwordx2 s[0:1], s[4:5], 0x48
	global_load_dword v0, v[4:5], off
	s_waitcnt lgkmcnt(0)
	v_mul_f64 v[7:8], s[0:1], s[0:1]
	s_mov_b32 s1, exec_lo
	s_waitcnt vmcnt(0)
	v_sub_f32_e32 v6, v0, v14
	v_add_nc_u32_e32 v0, s2, v3
	v_cvt_f64_f32_e32 v[9:10], v6
	v_cmpx_ge_f64_e32 v[7:8], v[9:10]
	s_cbranch_execz .LBB11_41
; %bb.37:
	s_mov_b32 s0, exec_lo
	s_brev_b32 s2, -2
.LBB11_38:                              ; =>This Inner Loop Header: Depth=1
	s_ff1_i32_b32 s4, s0
	v_readlane_b32 s5, v0, s4
	s_lshl_b32 s4, 1, s4
	s_andn2_b32 s0, s0, s4
	s_min_i32 s2, s2, s5
	s_cmp_lg_u32 s0, 0
	s_cbranch_scc1 .LBB11_38
; %bb.39:
	v_mbcnt_lo_u32_b32 v3, exec_lo, 0
	s_mov_b32 s4, exec_lo
	v_cmpx_eq_u32_e32 0, v3
	s_xor_b32 s4, exec_lo, s4
	s_cbranch_execz .LBB11_41
; %bb.40:
	v_mov_b32_e32 v3, 0
	v_mov_b32_e32 v7, s2
	global_atomic_smin v3, v7, s[14:15]
.LBB11_41:
	s_or_b32 exec_lo, exec_lo, s1
	v_cmp_gt_f32_e64 s0, 0, v6
	v_cndmask_b32_e64 v3, v6, -v6, s0
	v_mul_f32_e32 v7, 0x4f800000, v3
	v_cmp_gt_f32_e64 s0, 0xf800000, v3
	v_cndmask_b32_e64 v3, v3, v7, s0
	v_sqrt_f32_e32 v7, v3
	v_add_nc_u32_e32 v8, -1, v7
	v_add_nc_u32_e32 v9, 1, v7
	v_fma_f32 v10, -v8, v7, v3
	v_fma_f32 v11, -v9, v7, v3
	v_cmp_ge_f32_e64 s1, 0, v10
	v_cndmask_b32_e64 v7, v7, v8, s1
	v_cmp_lt_f32_e64 s1, 0, v11
	v_cndmask_b32_e64 v7, v7, v9, s1
	v_mul_f32_e32 v8, 0x37800000, v7
	v_cndmask_b32_e64 v7, v7, v8, s0
	v_cmp_class_f32_e64 s0, v3, 0x260
	v_cndmask_b32_e64 v3, v7, v3, s0
	v_cmp_eq_f32_e64 s0, 0, v6
	global_store_dword v[4:5], v3, off
	s_and_b32 exec_lo, exec_lo, s0
	s_cbranch_execz .LBB11_46
; %bb.42:
	s_mov_b32 s0, exec_lo
	s_brev_b32 s1, -2
.LBB11_43:                              ; =>This Inner Loop Header: Depth=1
	s_ff1_i32_b32 s2, s0
	v_readlane_b32 s4, v0, s2
	s_lshl_b32 s2, 1, s2
	s_andn2_b32 s0, s0, s2
	s_min_i32 s1, s1, s4
	s_cmp_lg_u32 s0, 0
	s_cbranch_scc1 .LBB11_43
; %bb.44:
	v_mbcnt_lo_u32_b32 v0, exec_lo, 0
	s_mov_b32 s2, exec_lo
	v_cmpx_eq_u32_e32 0, v0
	s_xor_b32 s2, exec_lo, s2
	s_cbranch_execz .LBB11_46
; %bb.45:
	v_mov_b32_e32 v0, 0
	v_mov_b32_e32 v3, s1
	global_atomic_smin v0, v3, s[12:13]
.LBB11_46:
	s_or_b32 exec_lo, exec_lo, s3
	s_and_b32 exec_lo, exec_lo, vcc_lo
	s_cbranch_execz .LBB11_48
; %bb.47:
	v_add_co_u32 v0, vcc_lo, s8, v1
	v_add_co_ci_u32_e64 v1, null, s9, v2, vcc_lo
	v_mov_b32_e32 v2, 1
	s_waitcnt lgkmcnt(0)
	s_waitcnt_vscnt null, 0x0
	global_store_dword v[0:1], v2, off
.LBB11_48:
	s_endpgm
	.section	.rodata,"a",@progbits
	.p2align	6, 0x0
	.amdhsa_kernel _ZN9rocsparseL18csric0_hash_kernelILj256ELj64ELj16EfEEviPKiS2_PT2_S2_PiS2_S5_S5_d21rocsparse_index_base_
		.amdhsa_group_segment_fixed_size 32768
		.amdhsa_private_segment_fixed_size 0
		.amdhsa_kernarg_size 84
		.amdhsa_user_sgpr_count 6
		.amdhsa_user_sgpr_private_segment_buffer 1
		.amdhsa_user_sgpr_dispatch_ptr 0
		.amdhsa_user_sgpr_queue_ptr 0
		.amdhsa_user_sgpr_kernarg_segment_ptr 1
		.amdhsa_user_sgpr_dispatch_id 0
		.amdhsa_user_sgpr_flat_scratch_init 0
		.amdhsa_user_sgpr_private_segment_size 0
		.amdhsa_wavefront_size32 1
		.amdhsa_uses_dynamic_stack 0
		.amdhsa_system_sgpr_private_segment_wavefront_offset 0
		.amdhsa_system_sgpr_workgroup_id_x 1
		.amdhsa_system_sgpr_workgroup_id_y 0
		.amdhsa_system_sgpr_workgroup_id_z 0
		.amdhsa_system_sgpr_workgroup_info 0
		.amdhsa_system_vgpr_workitem_id 0
		.amdhsa_next_free_vgpr 113
		.amdhsa_next_free_sgpr 31
		.amdhsa_reserve_vcc 1
		.amdhsa_reserve_flat_scratch 0
		.amdhsa_float_round_mode_32 0
		.amdhsa_float_round_mode_16_64 0
		.amdhsa_float_denorm_mode_32 3
		.amdhsa_float_denorm_mode_16_64 3
		.amdhsa_dx10_clamp 1
		.amdhsa_ieee_mode 1
		.amdhsa_fp16_overflow 0
		.amdhsa_workgroup_processor_mode 1
		.amdhsa_memory_ordered 1
		.amdhsa_forward_progress 1
		.amdhsa_shared_vgpr_count 0
		.amdhsa_exception_fp_ieee_invalid_op 0
		.amdhsa_exception_fp_denorm_src 0
		.amdhsa_exception_fp_ieee_div_zero 0
		.amdhsa_exception_fp_ieee_overflow 0
		.amdhsa_exception_fp_ieee_underflow 0
		.amdhsa_exception_fp_ieee_inexact 0
		.amdhsa_exception_int_div_zero 0
	.end_amdhsa_kernel
	.section	.text._ZN9rocsparseL18csric0_hash_kernelILj256ELj64ELj16EfEEviPKiS2_PT2_S2_PiS2_S5_S5_d21rocsparse_index_base_,"axG",@progbits,_ZN9rocsparseL18csric0_hash_kernelILj256ELj64ELj16EfEEviPKiS2_PT2_S2_PiS2_S5_S5_d21rocsparse_index_base_,comdat
.Lfunc_end11:
	.size	_ZN9rocsparseL18csric0_hash_kernelILj256ELj64ELj16EfEEviPKiS2_PT2_S2_PiS2_S5_S5_d21rocsparse_index_base_, .Lfunc_end11-_ZN9rocsparseL18csric0_hash_kernelILj256ELj64ELj16EfEEviPKiS2_PT2_S2_PiS2_S5_S5_d21rocsparse_index_base_
                                        ; -- End function
	.set _ZN9rocsparseL18csric0_hash_kernelILj256ELj64ELj16EfEEviPKiS2_PT2_S2_PiS2_S5_S5_d21rocsparse_index_base_.num_vgpr, 31
	.set _ZN9rocsparseL18csric0_hash_kernelILj256ELj64ELj16EfEEviPKiS2_PT2_S2_PiS2_S5_S5_d21rocsparse_index_base_.num_agpr, 0
	.set _ZN9rocsparseL18csric0_hash_kernelILj256ELj64ELj16EfEEviPKiS2_PT2_S2_PiS2_S5_S5_d21rocsparse_index_base_.numbered_sgpr, 31
	.set _ZN9rocsparseL18csric0_hash_kernelILj256ELj64ELj16EfEEviPKiS2_PT2_S2_PiS2_S5_S5_d21rocsparse_index_base_.num_named_barrier, 0
	.set _ZN9rocsparseL18csric0_hash_kernelILj256ELj64ELj16EfEEviPKiS2_PT2_S2_PiS2_S5_S5_d21rocsparse_index_base_.private_seg_size, 0
	.set _ZN9rocsparseL18csric0_hash_kernelILj256ELj64ELj16EfEEviPKiS2_PT2_S2_PiS2_S5_S5_d21rocsparse_index_base_.uses_vcc, 1
	.set _ZN9rocsparseL18csric0_hash_kernelILj256ELj64ELj16EfEEviPKiS2_PT2_S2_PiS2_S5_S5_d21rocsparse_index_base_.uses_flat_scratch, 0
	.set _ZN9rocsparseL18csric0_hash_kernelILj256ELj64ELj16EfEEviPKiS2_PT2_S2_PiS2_S5_S5_d21rocsparse_index_base_.has_dyn_sized_stack, 0
	.set _ZN9rocsparseL18csric0_hash_kernelILj256ELj64ELj16EfEEviPKiS2_PT2_S2_PiS2_S5_S5_d21rocsparse_index_base_.has_recursion, 0
	.set _ZN9rocsparseL18csric0_hash_kernelILj256ELj64ELj16EfEEviPKiS2_PT2_S2_PiS2_S5_S5_d21rocsparse_index_base_.has_indirect_call, 0
	.section	.AMDGPU.csdata,"",@progbits
; Kernel info:
; codeLenInByte = 2220
; TotalNumSgprs: 33
; NumVgprs: 31
; ScratchSize: 0
; MemoryBound: 0
; FloatMode: 240
; IeeeMode: 1
; LDSByteSize: 32768 bytes/workgroup (compile time only)
; SGPRBlocks: 0
; VGPRBlocks: 14
; NumSGPRsForWavesPerEU: 33
; NumVGPRsForWavesPerEU: 113
; Occupancy: 8
; WaveLimiterHint : 1
; COMPUTE_PGM_RSRC2:SCRATCH_EN: 0
; COMPUTE_PGM_RSRC2:USER_SGPR: 6
; COMPUTE_PGM_RSRC2:TRAP_HANDLER: 0
; COMPUTE_PGM_RSRC2:TGID_X_EN: 1
; COMPUTE_PGM_RSRC2:TGID_Y_EN: 0
; COMPUTE_PGM_RSRC2:TGID_Z_EN: 0
; COMPUTE_PGM_RSRC2:TIDIG_COMP_CNT: 0
	.section	.text._ZN9rocsparseL23csric0_binsearch_kernelILj256ELj64ELb0EfEEviPKiS2_PT2_S2_PiS2_S5_S5_d21rocsparse_index_base_,"axG",@progbits,_ZN9rocsparseL23csric0_binsearch_kernelILj256ELj64ELb0EfEEviPKiS2_PT2_S2_PiS2_S5_S5_d21rocsparse_index_base_,comdat
	.globl	_ZN9rocsparseL23csric0_binsearch_kernelILj256ELj64ELb0EfEEviPKiS2_PT2_S2_PiS2_S5_S5_d21rocsparse_index_base_ ; -- Begin function _ZN9rocsparseL23csric0_binsearch_kernelILj256ELj64ELb0EfEEviPKiS2_PT2_S2_PiS2_S5_S5_d21rocsparse_index_base_
	.p2align	8
	.type	_ZN9rocsparseL23csric0_binsearch_kernelILj256ELj64ELb0EfEEviPKiS2_PT2_S2_PiS2_S5_S5_d21rocsparse_index_base_,@function
_ZN9rocsparseL23csric0_binsearch_kernelILj256ELj64ELb0EfEEviPKiS2_PT2_S2_PiS2_S5_S5_d21rocsparse_index_base_: ; @_ZN9rocsparseL23csric0_binsearch_kernelILj256ELj64ELb0EfEEviPKiS2_PT2_S2_PiS2_S5_S5_d21rocsparse_index_base_
; %bb.0:
	s_load_dword s0, s[4:5], 0x0
	v_lshrrev_b32_e32 v1, 6, v0
	s_lshl_b32 s1, s6, 2
	v_and_or_b32 v1, 0x3fffffc, s1, v1
	s_waitcnt lgkmcnt(0)
	v_cmp_gt_i32_e32 vcc_lo, s0, v1
	s_and_saveexec_b32 s0, vcc_lo
	s_cbranch_execz .LBB12_47
; %bb.1:
	s_load_dwordx8 s[8:15], s[4:5], 0x18
	v_lshlrev_b32_e32 v1, 2, v1
	v_and_b32_e32 v14, 63, v0
	v_mov_b32_e32 v0, 0
	s_mov_b32 s20, exec_lo
	s_waitcnt lgkmcnt(0)
	global_load_dword v3, v1, s[14:15]
	s_load_dwordx2 s[14:15], s[4:5], 0x8
	s_waitcnt vmcnt(0)
	v_ashrrev_i32_e32 v4, 31, v3
	v_lshlrev_b64 v[1:2], 2, v[3:4]
	s_waitcnt lgkmcnt(0)
	v_add_co_u32 v5, vcc_lo, s14, v1
	v_add_co_ci_u32_e64 v6, null, s15, v2, vcc_lo
	v_add_co_u32 v7, vcc_lo, s10, v1
	v_add_co_ci_u32_e64 v8, null, s11, v2, vcc_lo
	global_load_dword v9, v[5:6], off
	global_load_dword v4, v[7:8], off
	s_clause 0x2
	s_load_dword s3, s[4:5], 0x50
	s_load_dwordx4 s[16:19], s[4:5], 0x38
	s_load_dwordx2 s[6:7], s[4:5], 0x48
	s_waitcnt vmcnt(1) lgkmcnt(0)
	v_subrev_nc_u32_e32 v15, s3, v9
	s_waitcnt vmcnt(0)
	v_cmpx_lt_i32_e64 v15, v4
	s_cbranch_execz .LBB12_34
; %bb.2:
	global_load_dword v5, v[5:6], off offset:4
	s_load_dwordx2 s[4:5], s[4:5], 0x10
	v_add_nc_u32_e32 v16, -1, v4
	v_cmp_eq_u32_e64 s0, 0, v14
	v_subrev_nc_u32_e32 v17, s3, v14
	v_cmp_eq_u32_e64 s1, 63, v14
	v_mov_b32_e32 v18, 0
	v_mbcnt_lo_u32_b32 v19, -1, 0
	v_mov_b32_e32 v0, 0
	s_mov_b32 s21, 0
	s_waitcnt vmcnt(0)
	v_xad_u32 v20, s3, -1, v5
	v_mov_b32_e32 v5, v15
	s_branch .LBB12_5
.LBB12_3:                               ;   in Loop: Header=BB12_5 Depth=1
	s_or_b32 exec_lo, exec_lo, s23
.LBB12_4:                               ;   in Loop: Header=BB12_5 Depth=1
	s_or_b32 exec_lo, exec_lo, s22
	v_add_nc_u32_e32 v5, 1, v5
	s_xor_b32 s2, s2, -1
	v_cmp_ge_i32_e32 vcc_lo, v5, v4
	s_or_b32 s2, s2, vcc_lo
	s_and_b32 s2, exec_lo, s2
	s_or_b32 s21, s2, s21
	s_andn2_b32 exec_lo, exec_lo, s21
	s_cbranch_execz .LBB12_33
.LBB12_5:                               ; =>This Loop Header: Depth=1
                                        ;     Child Loop BB12_7 Depth 2
                                        ;     Child Loop BB12_11 Depth 2
	;; [unrolled: 1-line block ×4, first 2 shown]
                                        ;       Child Loop BB12_26 Depth 3
	v_ashrrev_i32_e32 v6, 31, v5
	s_mov_b32 s2, exec_lo
	v_lshlrev_b64 v[6:7], 2, v[5:6]
	s_waitcnt lgkmcnt(0)
	v_add_co_u32 v8, vcc_lo, s4, v6
	v_add_co_ci_u32_e64 v9, null, s5, v7, vcc_lo
	v_add_co_u32 v6, vcc_lo, s8, v6
	v_add_co_ci_u32_e64 v7, null, s9, v7, vcc_lo
	global_load_dword v10, v[8:9], off
	s_waitcnt vmcnt(0)
	v_subrev_nc_u32_e32 v8, s3, v10
	v_ashrrev_i32_e32 v9, 31, v8
	v_lshlrev_b64 v[8:9], 2, v[8:9]
	v_add_co_u32 v11, vcc_lo, s14, v8
	v_add_co_ci_u32_e64 v12, null, s15, v9, vcc_lo
	v_add_co_u32 v22, vcc_lo, s10, v8
	v_add_co_ci_u32_e64 v23, null, s11, v9, vcc_lo
	;; [unrolled: 2-line block ×3, first 2 shown]
	global_load_dword v21, v[6:7], off
	global_load_dword v11, v[11:12], off
	;; [unrolled: 1-line block ×3, first 2 shown]
	global_load_dword v13, v[8:9], off glc dlc
	s_waitcnt vmcnt(0)
	v_cmpx_eq_u32_e32 0, v13
	s_cbranch_execz .LBB12_8
; %bb.6:                                ;   in Loop: Header=BB12_5 Depth=1
	s_mov_b32 s22, 0
.LBB12_7:                               ;   Parent Loop BB12_5 Depth=1
                                        ; =>  This Inner Loop Header: Depth=2
	global_load_dword v13, v[8:9], off glc dlc
	s_waitcnt vmcnt(0)
	v_cmp_ne_u32_e32 vcc_lo, 0, v13
	s_or_b32 s22, vcc_lo, s22
	s_andn2_b32 exec_lo, exec_lo, s22
	s_cbranch_execnz .LBB12_7
.LBB12_8:                               ;   in Loop: Header=BB12_5 Depth=1
	s_or_b32 exec_lo, exec_lo, s2
	v_cmp_eq_u32_e32 vcc_lo, -1, v12
	buffer_gl1_inv
	buffer_gl0_inv
	s_mov_b32 s22, exec_lo
	v_cndmask_b32_e32 v8, v12, v16, vcc_lo
	v_ashrrev_i32_e32 v9, 31, v8
	v_lshlrev_b64 v[12:13], 2, v[8:9]
	v_add_co_u32 v12, vcc_lo, s8, v12
	v_add_co_ci_u32_e64 v13, null, s9, v13, vcc_lo
	global_load_dword v22, v[12:13], off
	s_waitcnt vmcnt(0)
	v_cmp_neq_f32_e64 s2, 0, v22
	v_cmpx_eq_f32_e32 0, v22
	s_xor_b32 s22, exec_lo, s22
	s_cbranch_execz .LBB12_15
; %bb.9:                                ;   in Loop: Header=BB12_5 Depth=1
	s_and_saveexec_b32 s23, s0
	s_cbranch_execz .LBB12_14
; %bb.10:                               ;   in Loop: Header=BB12_5 Depth=1
	s_mov_b32 s25, exec_lo
	s_brev_b32 s24, -2
.LBB12_11:                              ;   Parent Loop BB12_5 Depth=1
                                        ; =>  This Inner Loop Header: Depth=2
	s_ff1_i32_b32 s26, s25
	v_readlane_b32 s27, v10, s26
	s_lshl_b32 s26, 1, s26
	s_andn2_b32 s25, s25, s26
	s_min_i32 s24, s24, s27
	s_cmp_lg_u32 s25, 0
	s_cbranch_scc1 .LBB12_11
; %bb.12:                               ;   in Loop: Header=BB12_5 Depth=1
	v_mbcnt_lo_u32_b32 v6, exec_lo, 0
	s_mov_b32 s25, exec_lo
	v_cmpx_eq_u32_e32 0, v6
	s_xor_b32 s25, exec_lo, s25
	s_cbranch_execz .LBB12_14
; %bb.13:                               ;   in Loop: Header=BB12_5 Depth=1
	v_mov_b32_e32 v6, s24
	global_atomic_smin v18, v6, s[16:17]
.LBB12_14:                              ;   in Loop: Header=BB12_5 Depth=1
	s_or_b32 exec_lo, exec_lo, s23
                                        ; implicit-def: $vgpr22
                                        ; implicit-def: $vgpr21
                                        ; implicit-def: $vgpr6_vgpr7
                                        ; implicit-def: $vgpr11
                                        ; implicit-def: $vgpr8
                                        ; implicit-def: $vgpr10
.LBB12_15:                              ;   in Loop: Header=BB12_5 Depth=1
	s_andn2_saveexec_b32 s22, s22
	s_cbranch_execz .LBB12_4
; %bb.16:                               ;   in Loop: Header=BB12_5 Depth=1
	v_cvt_f64_f32_e32 v[12:13], v22
	v_cmp_ge_f64_e32 vcc_lo, s[6:7], v[12:13]
	s_and_b32 s24, s0, vcc_lo
	s_and_saveexec_b32 s23, s24
	s_cbranch_execz .LBB12_21
; %bb.17:                               ;   in Loop: Header=BB12_5 Depth=1
	s_mov_b32 s25, exec_lo
	s_brev_b32 s24, -2
.LBB12_18:                              ;   Parent Loop BB12_5 Depth=1
                                        ; =>  This Inner Loop Header: Depth=2
	s_ff1_i32_b32 s26, s25
	v_readlane_b32 s27, v10, s26
	s_lshl_b32 s26, 1, s26
	s_andn2_b32 s25, s25, s26
	s_min_i32 s24, s24, s27
	s_cmp_lg_u32 s25, 0
	s_cbranch_scc1 .LBB12_18
; %bb.19:                               ;   in Loop: Header=BB12_5 Depth=1
	v_mbcnt_lo_u32_b32 v9, exec_lo, 0
	s_mov_b32 s25, exec_lo
	v_cmpx_eq_u32_e32 0, v9
	s_xor_b32 s25, exec_lo, s25
	s_cbranch_execz .LBB12_21
; %bb.20:                               ;   in Loop: Header=BB12_5 Depth=1
	v_mov_b32_e32 v9, s24
	global_atomic_smin v18, v9, s[18:19]
.LBB12_21:                              ;   in Loop: Header=BB12_5 Depth=1
	s_or_b32 exec_lo, exec_lo, s23
	v_add_nc_u32_e32 v9, v17, v11
	v_mov_b32_e32 v23, 0
	s_mov_b32 s23, exec_lo
	v_cmpx_lt_i32_e64 v9, v8
	s_cbranch_execz .LBB12_31
; %bb.22:                               ;   in Loop: Header=BB12_5 Depth=1
	v_mov_b32_e32 v23, 0
	v_mov_b32_e32 v24, v15
	s_mov_b32 s24, 0
	s_branch .LBB12_24
.LBB12_23:                              ;   in Loop: Header=BB12_24 Depth=2
	s_or_b32 exec_lo, exec_lo, s25
	v_add_nc_u32_e32 v9, 64, v9
	v_cmp_ge_i32_e32 vcc_lo, v9, v8
	s_or_b32 s24, vcc_lo, s24
	s_andn2_b32 exec_lo, exec_lo, s24
	s_cbranch_execz .LBB12_30
.LBB12_24:                              ;   Parent Loop BB12_5 Depth=1
                                        ; =>  This Loop Header: Depth=2
                                        ;       Child Loop BB12_26 Depth 3
	v_add_nc_u32_e32 v10, v24, v20
	s_mov_b32 s25, exec_lo
	v_ashrrev_i32_e32 v12, 1, v10
	v_ashrrev_i32_e32 v10, 31, v9
	;; [unrolled: 1-line block ×3, first 2 shown]
	v_lshlrev_b64 v[10:11], 2, v[9:10]
	v_lshlrev_b64 v[25:26], 2, v[12:13]
	v_add_co_u32 v27, vcc_lo, s4, v10
	v_add_co_ci_u32_e64 v28, null, s5, v11, vcc_lo
	v_add_co_u32 v29, vcc_lo, s4, v25
	v_add_co_ci_u32_e64 v30, null, s5, v26, vcc_lo
	s_clause 0x1
	global_load_dword v25, v[27:28], off
	global_load_dword v26, v[29:30], off
	v_cmpx_lt_i32_e64 v24, v20
	s_cbranch_execz .LBB12_28
; %bb.25:                               ;   in Loop: Header=BB12_24 Depth=2
	v_mov_b32_e32 v27, v20
	s_mov_b32 s26, 0
	.p2align	6
.LBB12_26:                              ;   Parent Loop BB12_5 Depth=1
                                        ;     Parent Loop BB12_24 Depth=2
                                        ; =>    This Inner Loop Header: Depth=3
	v_add_nc_u32_e32 v13, 1, v12
	s_waitcnt vmcnt(0)
	v_cmp_lt_i32_e32 vcc_lo, v26, v25
	v_cndmask_b32_e32 v24, v24, v13, vcc_lo
	v_cndmask_b32_e32 v27, v12, v27, vcc_lo
	v_add_nc_u32_e32 v12, v27, v24
	v_ashrrev_i32_e32 v12, 1, v12
	v_ashrrev_i32_e32 v13, 31, v12
	v_lshlrev_b64 v[28:29], 2, v[12:13]
	v_add_co_u32 v28, vcc_lo, s4, v28
	v_add_co_ci_u32_e64 v29, null, s5, v29, vcc_lo
	v_cmp_ge_i32_e32 vcc_lo, v24, v27
	global_load_dword v26, v[28:29], off
	s_or_b32 s26, vcc_lo, s26
	s_andn2_b32 exec_lo, exec_lo, s26
	s_cbranch_execnz .LBB12_26
; %bb.27:                               ;   in Loop: Header=BB12_24 Depth=2
	s_or_b32 exec_lo, exec_lo, s26
.LBB12_28:                              ;   in Loop: Header=BB12_24 Depth=2
	s_or_b32 exec_lo, exec_lo, s25
	s_mov_b32 s25, exec_lo
	s_waitcnt vmcnt(0)
	v_cmpx_eq_u32_e64 v26, v25
	s_cbranch_execz .LBB12_23
; %bb.29:                               ;   in Loop: Header=BB12_24 Depth=2
	v_lshlrev_b64 v[12:13], 2, v[12:13]
	v_add_co_u32 v10, vcc_lo, s8, v10
	v_add_co_ci_u32_e64 v11, null, s9, v11, vcc_lo
	v_add_co_u32 v12, vcc_lo, s8, v12
	v_add_co_ci_u32_e64 v13, null, s9, v13, vcc_lo
	s_clause 0x1
	global_load_dword v10, v[10:11], off
	global_load_dword v11, v[12:13], off
	s_waitcnt vmcnt(0)
	v_fmac_f32_e32 v23, v10, v11
	s_branch .LBB12_23
.LBB12_30:                              ;   in Loop: Header=BB12_5 Depth=1
	s_or_b32 exec_lo, exec_lo, s24
.LBB12_31:                              ;   in Loop: Header=BB12_5 Depth=1
	s_or_b32 exec_lo, exec_lo, s23
	v_or_b32_e32 v8, 32, v19
	v_xor_b32_e32 v9, 16, v19
	v_xor_b32_e32 v10, 8, v19
	v_cmp_gt_i32_e32 vcc_lo, 32, v8
	v_cndmask_b32_e32 v8, v19, v8, vcc_lo
	v_cmp_gt_i32_e32 vcc_lo, 32, v9
	v_lshlrev_b32_e32 v8, 2, v8
	v_cndmask_b32_e32 v9, v19, v9, vcc_lo
	v_cmp_gt_i32_e32 vcc_lo, 32, v10
	ds_bpermute_b32 v8, v8, v23
	v_lshlrev_b32_e32 v9, 2, v9
	v_cndmask_b32_e32 v10, v19, v10, vcc_lo
	v_lshlrev_b32_e32 v10, 2, v10
	s_waitcnt lgkmcnt(0)
	v_add_f32_e32 v8, v23, v8
	ds_bpermute_b32 v9, v9, v8
	s_waitcnt lgkmcnt(0)
	v_add_f32_e32 v8, v8, v9
	ds_bpermute_b32 v9, v10, v8
	v_xor_b32_e32 v10, 4, v19
	v_cmp_gt_i32_e32 vcc_lo, 32, v10
	v_cndmask_b32_e32 v10, v19, v10, vcc_lo
	v_lshlrev_b32_e32 v10, 2, v10
	s_waitcnt lgkmcnt(0)
	v_add_f32_e32 v8, v8, v9
	ds_bpermute_b32 v9, v10, v8
	v_xor_b32_e32 v10, 2, v19
	v_cmp_gt_i32_e32 vcc_lo, 32, v10
	v_cndmask_b32_e32 v10, v19, v10, vcc_lo
	v_lshlrev_b32_e32 v10, 2, v10
	s_waitcnt lgkmcnt(0)
	v_add_f32_e32 v8, v8, v9
	ds_bpermute_b32 v9, v10, v8
	v_xor_b32_e32 v10, 1, v19
	v_cmp_gt_i32_e32 vcc_lo, 32, v10
	v_cndmask_b32_e32 v10, v19, v10, vcc_lo
	s_waitcnt lgkmcnt(0)
	v_add_f32_e32 v8, v8, v9
	v_lshlrev_b32_e32 v9, 2, v10
	ds_bpermute_b32 v9, v9, v8
	s_and_saveexec_b32 s23, s1
	s_cbranch_execz .LBB12_3
; %bb.32:                               ;   in Loop: Header=BB12_5 Depth=1
	v_div_scale_f32 v10, null, v22, v22, 1.0
	v_div_scale_f32 v13, vcc_lo, 1.0, v22, 1.0
	s_waitcnt lgkmcnt(0)
	v_add_f32_e32 v8, v8, v9
	v_rcp_f32_e32 v11, v10
	v_sub_f32_e32 v8, v21, v8
	v_fma_f32 v12, -v10, v11, 1.0
	v_fmac_f32_e32 v11, v12, v11
	v_mul_f32_e32 v12, v13, v11
	v_fma_f32 v23, -v10, v12, v13
	v_fmac_f32_e32 v12, v23, v11
	v_fma_f32 v10, -v10, v12, v13
	v_div_fmas_f32 v10, v10, v11, v12
	v_div_fixup_f32 v9, v10, v22, 1.0
	v_mul_f32_e32 v8, v9, v8
	v_fmac_f32_e32 v0, v8, v8
	global_store_dword v[6:7], v8, off
	s_branch .LBB12_3
.LBB12_33:
	s_or_b32 exec_lo, exec_lo, s21
.LBB12_34:
	s_or_b32 exec_lo, exec_lo, s20
	v_cmp_eq_u32_e32 vcc_lo, 63, v14
	v_cmp_lt_i32_e64 s0, -1, v4
	s_and_b32 s0, vcc_lo, s0
	s_and_saveexec_b32 s2, s0
	s_cbranch_execz .LBB12_45
; %bb.35:
	v_mov_b32_e32 v5, 0
	v_mul_f64 v[7:8], s[6:7], s[6:7]
	s_mov_b32 s1, exec_lo
	v_lshlrev_b64 v[4:5], 2, v[4:5]
	v_add_co_u32 v4, s0, s8, v4
	v_add_co_ci_u32_e64 v5, null, s9, v5, s0
	global_load_dword v6, v[4:5], off
	s_waitcnt vmcnt(0)
	v_sub_f32_e32 v6, v6, v0
	v_add_nc_u32_e32 v0, s3, v3
	s_waitcnt lgkmcnt(0)
	v_cvt_f64_f32_e32 v[9:10], v6
	v_cmpx_ge_f64_e32 v[7:8], v[9:10]
	s_cbranch_execz .LBB12_40
; %bb.36:
	s_mov_b32 s0, exec_lo
	s_brev_b32 s3, -2
.LBB12_37:                              ; =>This Inner Loop Header: Depth=1
	s_ff1_i32_b32 s4, s0
	v_readlane_b32 s5, v0, s4
	s_lshl_b32 s4, 1, s4
	s_andn2_b32 s0, s0, s4
	s_min_i32 s3, s3, s5
	s_cmp_lg_u32 s0, 0
	s_cbranch_scc1 .LBB12_37
; %bb.38:
	v_mbcnt_lo_u32_b32 v3, exec_lo, 0
	s_mov_b32 s4, exec_lo
	v_cmpx_eq_u32_e32 0, v3
	s_xor_b32 s4, exec_lo, s4
	s_cbranch_execz .LBB12_40
; %bb.39:
	v_mov_b32_e32 v3, 0
	v_mov_b32_e32 v7, s3
	global_atomic_smin v3, v7, s[18:19]
.LBB12_40:
	s_or_b32 exec_lo, exec_lo, s1
	v_cmp_gt_f32_e64 s0, 0, v6
	v_cndmask_b32_e64 v3, v6, -v6, s0
	v_mul_f32_e32 v7, 0x4f800000, v3
	v_cmp_gt_f32_e64 s0, 0xf800000, v3
	v_cndmask_b32_e64 v3, v3, v7, s0
	v_sqrt_f32_e32 v7, v3
	v_add_nc_u32_e32 v8, -1, v7
	v_add_nc_u32_e32 v9, 1, v7
	v_fma_f32 v10, -v8, v7, v3
	v_fma_f32 v11, -v9, v7, v3
	v_cmp_ge_f32_e64 s1, 0, v10
	v_cndmask_b32_e64 v7, v7, v8, s1
	v_cmp_lt_f32_e64 s1, 0, v11
	v_cndmask_b32_e64 v7, v7, v9, s1
	v_mul_f32_e32 v8, 0x37800000, v7
	v_cndmask_b32_e64 v7, v7, v8, s0
	v_cmp_class_f32_e64 s0, v3, 0x260
	v_cndmask_b32_e64 v3, v7, v3, s0
	v_cmp_eq_f32_e64 s0, 0, v6
	global_store_dword v[4:5], v3, off
	s_and_b32 exec_lo, exec_lo, s0
	s_cbranch_execz .LBB12_45
; %bb.41:
	s_mov_b32 s0, exec_lo
	s_brev_b32 s1, -2
.LBB12_42:                              ; =>This Inner Loop Header: Depth=1
	s_ff1_i32_b32 s3, s0
	v_readlane_b32 s4, v0, s3
	s_lshl_b32 s3, 1, s3
	s_andn2_b32 s0, s0, s3
	s_min_i32 s1, s1, s4
	s_cmp_lg_u32 s0, 0
	s_cbranch_scc1 .LBB12_42
; %bb.43:
	v_mbcnt_lo_u32_b32 v0, exec_lo, 0
	s_mov_b32 s3, exec_lo
	v_cmpx_eq_u32_e32 0, v0
	s_xor_b32 s3, exec_lo, s3
	s_cbranch_execz .LBB12_45
; %bb.44:
	v_mov_b32_e32 v0, 0
	v_mov_b32_e32 v3, s1
	global_atomic_smin v0, v3, s[16:17]
.LBB12_45:
	s_or_b32 exec_lo, exec_lo, s2
	s_and_b32 exec_lo, exec_lo, vcc_lo
	s_cbranch_execz .LBB12_47
; %bb.46:
	v_add_co_u32 v0, vcc_lo, s12, v1
	v_add_co_ci_u32_e64 v1, null, s13, v2, vcc_lo
	v_mov_b32_e32 v2, 1
	s_waitcnt lgkmcnt(0)
	s_waitcnt_vscnt null, 0x0
	global_store_dword v[0:1], v2, off
.LBB12_47:
	s_endpgm
	.section	.rodata,"a",@progbits
	.p2align	6, 0x0
	.amdhsa_kernel _ZN9rocsparseL23csric0_binsearch_kernelILj256ELj64ELb0EfEEviPKiS2_PT2_S2_PiS2_S5_S5_d21rocsparse_index_base_
		.amdhsa_group_segment_fixed_size 0
		.amdhsa_private_segment_fixed_size 0
		.amdhsa_kernarg_size 84
		.amdhsa_user_sgpr_count 6
		.amdhsa_user_sgpr_private_segment_buffer 1
		.amdhsa_user_sgpr_dispatch_ptr 0
		.amdhsa_user_sgpr_queue_ptr 0
		.amdhsa_user_sgpr_kernarg_segment_ptr 1
		.amdhsa_user_sgpr_dispatch_id 0
		.amdhsa_user_sgpr_flat_scratch_init 0
		.amdhsa_user_sgpr_private_segment_size 0
		.amdhsa_wavefront_size32 1
		.amdhsa_uses_dynamic_stack 0
		.amdhsa_system_sgpr_private_segment_wavefront_offset 0
		.amdhsa_system_sgpr_workgroup_id_x 1
		.amdhsa_system_sgpr_workgroup_id_y 0
		.amdhsa_system_sgpr_workgroup_id_z 0
		.amdhsa_system_sgpr_workgroup_info 0
		.amdhsa_system_vgpr_workitem_id 0
		.amdhsa_next_free_vgpr 31
		.amdhsa_next_free_sgpr 28
		.amdhsa_reserve_vcc 1
		.amdhsa_reserve_flat_scratch 0
		.amdhsa_float_round_mode_32 0
		.amdhsa_float_round_mode_16_64 0
		.amdhsa_float_denorm_mode_32 3
		.amdhsa_float_denorm_mode_16_64 3
		.amdhsa_dx10_clamp 1
		.amdhsa_ieee_mode 1
		.amdhsa_fp16_overflow 0
		.amdhsa_workgroup_processor_mode 1
		.amdhsa_memory_ordered 1
		.amdhsa_forward_progress 1
		.amdhsa_shared_vgpr_count 0
		.amdhsa_exception_fp_ieee_invalid_op 0
		.amdhsa_exception_fp_denorm_src 0
		.amdhsa_exception_fp_ieee_div_zero 0
		.amdhsa_exception_fp_ieee_overflow 0
		.amdhsa_exception_fp_ieee_underflow 0
		.amdhsa_exception_fp_ieee_inexact 0
		.amdhsa_exception_int_div_zero 0
	.end_amdhsa_kernel
	.section	.text._ZN9rocsparseL23csric0_binsearch_kernelILj256ELj64ELb0EfEEviPKiS2_PT2_S2_PiS2_S5_S5_d21rocsparse_index_base_,"axG",@progbits,_ZN9rocsparseL23csric0_binsearch_kernelILj256ELj64ELb0EfEEviPKiS2_PT2_S2_PiS2_S5_S5_d21rocsparse_index_base_,comdat
.Lfunc_end12:
	.size	_ZN9rocsparseL23csric0_binsearch_kernelILj256ELj64ELb0EfEEviPKiS2_PT2_S2_PiS2_S5_S5_d21rocsparse_index_base_, .Lfunc_end12-_ZN9rocsparseL23csric0_binsearch_kernelILj256ELj64ELb0EfEEviPKiS2_PT2_S2_PiS2_S5_S5_d21rocsparse_index_base_
                                        ; -- End function
	.set _ZN9rocsparseL23csric0_binsearch_kernelILj256ELj64ELb0EfEEviPKiS2_PT2_S2_PiS2_S5_S5_d21rocsparse_index_base_.num_vgpr, 31
	.set _ZN9rocsparseL23csric0_binsearch_kernelILj256ELj64ELb0EfEEviPKiS2_PT2_S2_PiS2_S5_S5_d21rocsparse_index_base_.num_agpr, 0
	.set _ZN9rocsparseL23csric0_binsearch_kernelILj256ELj64ELb0EfEEviPKiS2_PT2_S2_PiS2_S5_S5_d21rocsparse_index_base_.numbered_sgpr, 28
	.set _ZN9rocsparseL23csric0_binsearch_kernelILj256ELj64ELb0EfEEviPKiS2_PT2_S2_PiS2_S5_S5_d21rocsparse_index_base_.num_named_barrier, 0
	.set _ZN9rocsparseL23csric0_binsearch_kernelILj256ELj64ELb0EfEEviPKiS2_PT2_S2_PiS2_S5_S5_d21rocsparse_index_base_.private_seg_size, 0
	.set _ZN9rocsparseL23csric0_binsearch_kernelILj256ELj64ELb0EfEEviPKiS2_PT2_S2_PiS2_S5_S5_d21rocsparse_index_base_.uses_vcc, 1
	.set _ZN9rocsparseL23csric0_binsearch_kernelILj256ELj64ELb0EfEEviPKiS2_PT2_S2_PiS2_S5_S5_d21rocsparse_index_base_.uses_flat_scratch, 0
	.set _ZN9rocsparseL23csric0_binsearch_kernelILj256ELj64ELb0EfEEviPKiS2_PT2_S2_PiS2_S5_S5_d21rocsparse_index_base_.has_dyn_sized_stack, 0
	.set _ZN9rocsparseL23csric0_binsearch_kernelILj256ELj64ELb0EfEEviPKiS2_PT2_S2_PiS2_S5_S5_d21rocsparse_index_base_.has_recursion, 0
	.set _ZN9rocsparseL23csric0_binsearch_kernelILj256ELj64ELb0EfEEviPKiS2_PT2_S2_PiS2_S5_S5_d21rocsparse_index_base_.has_indirect_call, 0
	.section	.AMDGPU.csdata,"",@progbits
; Kernel info:
; codeLenInByte = 1996
; TotalNumSgprs: 30
; NumVgprs: 31
; ScratchSize: 0
; MemoryBound: 0
; FloatMode: 240
; IeeeMode: 1
; LDSByteSize: 0 bytes/workgroup (compile time only)
; SGPRBlocks: 0
; VGPRBlocks: 3
; NumSGPRsForWavesPerEU: 30
; NumVGPRsForWavesPerEU: 31
; Occupancy: 16
; WaveLimiterHint : 1
; COMPUTE_PGM_RSRC2:SCRATCH_EN: 0
; COMPUTE_PGM_RSRC2:USER_SGPR: 6
; COMPUTE_PGM_RSRC2:TRAP_HANDLER: 0
; COMPUTE_PGM_RSRC2:TGID_X_EN: 1
; COMPUTE_PGM_RSRC2:TGID_Y_EN: 0
; COMPUTE_PGM_RSRC2:TGID_Z_EN: 0
; COMPUTE_PGM_RSRC2:TIDIG_COMP_CNT: 0
	.section	.text._ZN9rocsparseL23csric0_binsearch_kernelILj256ELj64ELb1EdEEviPKiS2_PT2_S2_PiS2_S5_S5_d21rocsparse_index_base_,"axG",@progbits,_ZN9rocsparseL23csric0_binsearch_kernelILj256ELj64ELb1EdEEviPKiS2_PT2_S2_PiS2_S5_S5_d21rocsparse_index_base_,comdat
	.globl	_ZN9rocsparseL23csric0_binsearch_kernelILj256ELj64ELb1EdEEviPKiS2_PT2_S2_PiS2_S5_S5_d21rocsparse_index_base_ ; -- Begin function _ZN9rocsparseL23csric0_binsearch_kernelILj256ELj64ELb1EdEEviPKiS2_PT2_S2_PiS2_S5_S5_d21rocsparse_index_base_
	.p2align	8
	.type	_ZN9rocsparseL23csric0_binsearch_kernelILj256ELj64ELb1EdEEviPKiS2_PT2_S2_PiS2_S5_S5_d21rocsparse_index_base_,@function
_ZN9rocsparseL23csric0_binsearch_kernelILj256ELj64ELb1EdEEviPKiS2_PT2_S2_PiS2_S5_S5_d21rocsparse_index_base_: ; @_ZN9rocsparseL23csric0_binsearch_kernelILj256ELj64ELb1EdEEviPKiS2_PT2_S2_PiS2_S5_S5_d21rocsparse_index_base_
; %bb.0:
	s_load_dword s0, s[4:5], 0x0
	v_lshrrev_b32_e32 v1, 6, v0
	s_lshl_b32 s1, s6, 2
	v_and_or_b32 v1, 0x3fffffc, s1, v1
	s_waitcnt lgkmcnt(0)
	v_cmp_gt_i32_e32 vcc_lo, s0, v1
	s_and_saveexec_b32 s0, vcc_lo
	s_cbranch_execz .LBB13_49
; %bb.1:
	s_load_dwordx8 s[8:15], s[4:5], 0x18
	v_lshlrev_b32_e32 v1, 2, v1
	v_and_b32_e32 v0, 63, v0
	s_mov_b32 s20, exec_lo
	s_waitcnt lgkmcnt(0)
	global_load_dword v3, v1, s[14:15]
	s_load_dwordx2 s[14:15], s[4:5], 0x8
	s_waitcnt vmcnt(0)
	v_ashrrev_i32_e32 v4, 31, v3
	v_lshlrev_b64 v[1:2], 2, v[3:4]
	s_waitcnt lgkmcnt(0)
	v_add_co_u32 v8, vcc_lo, s14, v1
	v_add_co_ci_u32_e64 v9, null, s15, v2, vcc_lo
	v_add_co_u32 v4, vcc_lo, s10, v1
	v_add_co_ci_u32_e64 v5, null, s11, v2, vcc_lo
	global_load_dword v6, v[8:9], off
	global_load_dword v4, v[4:5], off
	s_clause 0x2
	s_load_dword s3, s[4:5], 0x50
	s_load_dwordx4 s[16:19], s[4:5], 0x38
	s_load_dwordx2 s[6:7], s[4:5], 0x48
	s_waitcnt vmcnt(1) lgkmcnt(0)
	v_subrev_nc_u32_e32 v5, s3, v6
	v_mov_b32_e32 v6, 0
	v_mov_b32_e32 v7, 0
	s_waitcnt vmcnt(0)
	v_cmpx_lt_i32_e64 v5, v4
	s_cbranch_execz .LBB13_36
; %bb.2:
	global_load_dword v8, v[8:9], off offset:4
	s_load_dwordx2 s[4:5], s[4:5], 0x10
	v_mov_b32_e32 v6, 0
	v_add_nc_u32_e32 v22, -1, v4
	v_cmp_eq_u32_e64 s0, 0, v0
	v_subrev_nc_u32_e32 v23, s3, v0
	v_cmp_eq_u32_e64 s1, 63, v0
	v_mov_b32_e32 v7, 0
	v_mov_b32_e32 v24, 0
	v_mbcnt_lo_u32_b32 v25, -1, 0
	s_mov_b32 s21, 0
	s_waitcnt vmcnt(0)
	v_xad_u32 v26, s3, -1, v8
	v_mov_b32_e32 v8, v5
	s_branch .LBB13_5
.LBB13_3:                               ;   in Loop: Header=BB13_5 Depth=1
	s_or_b32 exec_lo, exec_lo, s23
.LBB13_4:                               ;   in Loop: Header=BB13_5 Depth=1
	s_or_b32 exec_lo, exec_lo, s22
	v_add_nc_u32_e32 v8, 1, v8
	s_xor_b32 s2, s2, -1
	v_cmp_ge_i32_e32 vcc_lo, v8, v4
	s_or_b32 s2, s2, vcc_lo
	s_and_b32 s2, exec_lo, s2
	s_or_b32 s21, s2, s21
	s_andn2_b32 exec_lo, exec_lo, s21
	s_cbranch_execz .LBB13_35
.LBB13_5:                               ; =>This Loop Header: Depth=1
                                        ;     Child Loop BB13_8 Depth 2
                                        ;       Child Loop BB13_9 Depth 3
                                        ;     Child Loop BB13_13 Depth 2
                                        ;     Child Loop BB13_20 Depth 2
	;; [unrolled: 1-line block ×3, first 2 shown]
                                        ;       Child Loop BB13_28 Depth 3
	v_ashrrev_i32_e32 v9, 31, v8
	s_mov_b32 s2, exec_lo
	v_lshlrev_b64 v[10:11], 2, v[8:9]
	v_lshlrev_b64 v[12:13], 3, v[8:9]
	s_waitcnt lgkmcnt(0)
	v_add_co_u32 v10, vcc_lo, s4, v10
	v_add_co_ci_u32_e64 v11, null, s5, v11, vcc_lo
	v_add_co_u32 v9, vcc_lo, s8, v12
	global_load_dword v17, v[10:11], off
	s_waitcnt vmcnt(0)
	v_subrev_nc_u32_e32 v10, s3, v17
	v_ashrrev_i32_e32 v11, 31, v10
	v_lshlrev_b64 v[14:15], 2, v[10:11]
	v_add_co_ci_u32_e64 v10, null, s9, v13, vcc_lo
	v_add_co_u32 v18, vcc_lo, s14, v14
	v_add_co_ci_u32_e64 v19, null, s15, v15, vcc_lo
	v_add_co_u32 v20, vcc_lo, s10, v14
	;; [unrolled: 2-line block ×3, first 2 shown]
	v_add_co_ci_u32_e64 v14, null, s13, v15, vcc_lo
	global_load_dwordx2 v[11:12], v[9:10], off
	global_load_dword v18, v[18:19], off
	global_load_dword v15, v[20:21], off
	global_load_dword v16, v[13:14], off glc dlc
	s_waitcnt vmcnt(0)
	v_cmpx_eq_u32_e32 0, v16
	s_cbranch_execz .LBB13_10
; %bb.6:                                ;   in Loop: Header=BB13_5 Depth=1
	s_mov_b32 s22, 0
	s_mov_b32 s23, 0
	s_branch .LBB13_8
	.p2align	6
.LBB13_7:                               ;   in Loop: Header=BB13_8 Depth=2
	global_load_dword v16, v[13:14], off glc dlc
	s_cmpk_lt_u32 s23, 0xf43
	s_cselect_b32 s24, -1, 0
	s_cmp_lg_u32 s24, 0
	s_addc_u32 s23, s23, 0
	s_waitcnt vmcnt(0)
	v_cmp_ne_u32_e32 vcc_lo, 0, v16
	s_or_b32 s22, vcc_lo, s22
	s_andn2_b32 exec_lo, exec_lo, s22
	s_cbranch_execz .LBB13_10
.LBB13_8:                               ;   Parent Loop BB13_5 Depth=1
                                        ; =>  This Loop Header: Depth=2
                                        ;       Child Loop BB13_9 Depth 3
	s_cmp_eq_u32 s23, 0
	s_mov_b32 s24, s23
	s_cbranch_scc1 .LBB13_7
.LBB13_9:                               ;   Parent Loop BB13_5 Depth=1
                                        ;     Parent Loop BB13_8 Depth=2
                                        ; =>    This Inner Loop Header: Depth=3
	s_add_i32 s24, s24, -1
	s_sleep 1
	s_cmp_eq_u32 s24, 0
	s_cbranch_scc0 .LBB13_9
	s_branch .LBB13_7
.LBB13_10:                              ;   in Loop: Header=BB13_5 Depth=1
	s_or_b32 exec_lo, exec_lo, s2
	v_cmp_eq_u32_e32 vcc_lo, -1, v15
	buffer_gl1_inv
	buffer_gl0_inv
	s_mov_b32 s22, exec_lo
	v_cndmask_b32_e32 v15, v15, v22, vcc_lo
	v_ashrrev_i32_e32 v16, 31, v15
	v_lshlrev_b64 v[13:14], 3, v[15:16]
	v_add_co_u32 v13, vcc_lo, s8, v13
	v_add_co_ci_u32_e64 v14, null, s9, v14, vcc_lo
	global_load_dwordx2 v[13:14], v[13:14], off
	s_waitcnt vmcnt(0)
	v_cmp_neq_f64_e64 s2, 0, v[13:14]
	v_cmpx_eq_f64_e32 0, v[13:14]
	s_xor_b32 s22, exec_lo, s22
	s_cbranch_execz .LBB13_17
; %bb.11:                               ;   in Loop: Header=BB13_5 Depth=1
	s_and_saveexec_b32 s23, s0
	s_cbranch_execz .LBB13_16
; %bb.12:                               ;   in Loop: Header=BB13_5 Depth=1
	s_mov_b32 s25, exec_lo
	s_brev_b32 s24, -2
.LBB13_13:                              ;   Parent Loop BB13_5 Depth=1
                                        ; =>  This Inner Loop Header: Depth=2
	s_ff1_i32_b32 s26, s25
	v_readlane_b32 s27, v17, s26
	s_lshl_b32 s26, 1, s26
	s_andn2_b32 s25, s25, s26
	s_min_i32 s24, s24, s27
	s_cmp_lg_u32 s25, 0
	s_cbranch_scc1 .LBB13_13
; %bb.14:                               ;   in Loop: Header=BB13_5 Depth=1
	v_mbcnt_lo_u32_b32 v9, exec_lo, 0
	s_mov_b32 s25, exec_lo
	v_cmpx_eq_u32_e32 0, v9
	s_xor_b32 s25, exec_lo, s25
	s_cbranch_execz .LBB13_16
; %bb.15:                               ;   in Loop: Header=BB13_5 Depth=1
	v_mov_b32_e32 v9, s24
	global_atomic_smin v24, v9, s[16:17]
.LBB13_16:                              ;   in Loop: Header=BB13_5 Depth=1
	s_or_b32 exec_lo, exec_lo, s23
                                        ; implicit-def: $vgpr13_vgpr14
                                        ; implicit-def: $vgpr11_vgpr12
                                        ; implicit-def: $vgpr9_vgpr10
                                        ; implicit-def: $vgpr18
                                        ; implicit-def: $vgpr15
                                        ; implicit-def: $vgpr17
.LBB13_17:                              ;   in Loop: Header=BB13_5 Depth=1
	s_andn2_saveexec_b32 s22, s22
	s_cbranch_execz .LBB13_4
; %bb.18:                               ;   in Loop: Header=BB13_5 Depth=1
	v_cmp_ge_f64_e32 vcc_lo, s[6:7], v[13:14]
	s_and_b32 s24, s0, vcc_lo
	s_and_saveexec_b32 s23, s24
	s_cbranch_execz .LBB13_23
; %bb.19:                               ;   in Loop: Header=BB13_5 Depth=1
	s_mov_b32 s25, exec_lo
	s_brev_b32 s24, -2
.LBB13_20:                              ;   Parent Loop BB13_5 Depth=1
                                        ; =>  This Inner Loop Header: Depth=2
	s_ff1_i32_b32 s26, s25
	v_readlane_b32 s27, v17, s26
	s_lshl_b32 s26, 1, s26
	s_andn2_b32 s25, s25, s26
	s_min_i32 s24, s24, s27
	s_cmp_lg_u32 s25, 0
	s_cbranch_scc1 .LBB13_20
; %bb.21:                               ;   in Loop: Header=BB13_5 Depth=1
	v_mbcnt_lo_u32_b32 v16, exec_lo, 0
	s_mov_b32 s25, exec_lo
	v_cmpx_eq_u32_e32 0, v16
	s_xor_b32 s25, exec_lo, s25
	s_cbranch_execz .LBB13_23
; %bb.22:                               ;   in Loop: Header=BB13_5 Depth=1
	v_mov_b32_e32 v16, s24
	global_atomic_smin v24, v16, s[18:19]
.LBB13_23:                              ;   in Loop: Header=BB13_5 Depth=1
	s_or_b32 exec_lo, exec_lo, s23
	v_mov_b32_e32 v16, 0
	v_add_nc_u32_e32 v18, v23, v18
	v_mov_b32_e32 v17, 0
	s_mov_b32 s23, exec_lo
	v_cmpx_lt_i32_e64 v18, v15
	s_cbranch_execz .LBB13_33
; %bb.24:                               ;   in Loop: Header=BB13_5 Depth=1
	v_mov_b32_e32 v16, 0
	v_mov_b32_e32 v17, 0
	;; [unrolled: 1-line block ×3, first 2 shown]
	s_mov_b32 s24, 0
	s_branch .LBB13_26
.LBB13_25:                              ;   in Loop: Header=BB13_26 Depth=2
	s_or_b32 exec_lo, exec_lo, s25
	v_add_nc_u32_e32 v18, 64, v18
	v_cmp_ge_i32_e32 vcc_lo, v18, v15
	s_or_b32 s24, vcc_lo, s24
	s_andn2_b32 exec_lo, exec_lo, s24
	s_cbranch_execz .LBB13_32
.LBB13_26:                              ;   Parent Loop BB13_5 Depth=1
                                        ; =>  This Loop Header: Depth=2
                                        ;       Child Loop BB13_28 Depth 3
	v_add_nc_u32_e32 v19, v27, v26
	s_mov_b32 s25, exec_lo
	v_ashrrev_i32_e32 v20, 1, v19
	v_ashrrev_i32_e32 v19, 31, v18
	;; [unrolled: 1-line block ×3, first 2 shown]
	v_lshlrev_b64 v[28:29], 2, v[18:19]
	v_lshlrev_b64 v[30:31], 2, v[20:21]
	v_add_co_u32 v28, vcc_lo, s4, v28
	v_add_co_ci_u32_e64 v29, null, s5, v29, vcc_lo
	v_add_co_u32 v30, vcc_lo, s4, v30
	v_add_co_ci_u32_e64 v31, null, s5, v31, vcc_lo
	s_clause 0x1
	global_load_dword v28, v[28:29], off
	global_load_dword v29, v[30:31], off
	v_cmpx_lt_i32_e64 v27, v26
	s_cbranch_execz .LBB13_30
; %bb.27:                               ;   in Loop: Header=BB13_26 Depth=2
	v_mov_b32_e32 v30, v26
	s_mov_b32 s26, 0
	.p2align	6
.LBB13_28:                              ;   Parent Loop BB13_5 Depth=1
                                        ;     Parent Loop BB13_26 Depth=2
                                        ; =>    This Inner Loop Header: Depth=3
	v_add_nc_u32_e32 v21, 1, v20
	s_waitcnt vmcnt(0)
	v_cmp_lt_i32_e32 vcc_lo, v29, v28
	v_cndmask_b32_e32 v27, v27, v21, vcc_lo
	v_cndmask_b32_e32 v30, v20, v30, vcc_lo
	v_add_nc_u32_e32 v20, v30, v27
	v_ashrrev_i32_e32 v20, 1, v20
	v_ashrrev_i32_e32 v21, 31, v20
	v_lshlrev_b64 v[31:32], 2, v[20:21]
	v_add_co_u32 v31, vcc_lo, s4, v31
	v_add_co_ci_u32_e64 v32, null, s5, v32, vcc_lo
	v_cmp_ge_i32_e32 vcc_lo, v27, v30
	global_load_dword v29, v[31:32], off
	s_or_b32 s26, vcc_lo, s26
	s_andn2_b32 exec_lo, exec_lo, s26
	s_cbranch_execnz .LBB13_28
; %bb.29:                               ;   in Loop: Header=BB13_26 Depth=2
	s_or_b32 exec_lo, exec_lo, s26
.LBB13_30:                              ;   in Loop: Header=BB13_26 Depth=2
	s_or_b32 exec_lo, exec_lo, s25
	s_mov_b32 s25, exec_lo
	s_waitcnt vmcnt(0)
	v_cmpx_eq_u32_e64 v29, v28
	s_cbranch_execz .LBB13_25
; %bb.31:                               ;   in Loop: Header=BB13_26 Depth=2
	v_lshlrev_b64 v[28:29], 3, v[18:19]
	v_lshlrev_b64 v[19:20], 3, v[20:21]
	v_add_co_u32 v28, vcc_lo, s8, v28
	v_add_co_ci_u32_e64 v29, null, s9, v29, vcc_lo
	v_add_co_u32 v19, vcc_lo, s8, v19
	v_add_co_ci_u32_e64 v20, null, s9, v20, vcc_lo
	s_clause 0x1
	global_load_dwordx2 v[28:29], v[28:29], off
	global_load_dwordx2 v[19:20], v[19:20], off
	s_waitcnt vmcnt(0)
	v_fma_f64 v[16:17], v[28:29], v[19:20], v[16:17]
	s_branch .LBB13_25
.LBB13_32:                              ;   in Loop: Header=BB13_5 Depth=1
	s_or_b32 exec_lo, exec_lo, s24
.LBB13_33:                              ;   in Loop: Header=BB13_5 Depth=1
	s_or_b32 exec_lo, exec_lo, s23
	v_or_b32_e32 v15, 32, v25
	v_cmp_gt_i32_e32 vcc_lo, 32, v15
	v_cndmask_b32_e32 v15, v25, v15, vcc_lo
	v_lshlrev_b32_e32 v15, 2, v15
	ds_bpermute_b32 v18, v15, v16
	ds_bpermute_b32 v19, v15, v17
	s_waitcnt lgkmcnt(0)
	v_add_f64 v[15:16], v[16:17], v[18:19]
	v_xor_b32_e32 v17, 16, v25
	v_cmp_gt_i32_e32 vcc_lo, 32, v17
	v_cndmask_b32_e32 v17, v25, v17, vcc_lo
	v_lshlrev_b32_e32 v18, 2, v17
	ds_bpermute_b32 v17, v18, v15
	ds_bpermute_b32 v18, v18, v16
	s_waitcnt lgkmcnt(0)
	v_add_f64 v[15:16], v[15:16], v[17:18]
	v_xor_b32_e32 v17, 8, v25
	;; [unrolled: 8-line block ×5, first 2 shown]
	v_cmp_gt_i32_e32 vcc_lo, 32, v17
	v_cndmask_b32_e32 v17, v25, v17, vcc_lo
	v_lshlrev_b32_e32 v18, 2, v17
	ds_bpermute_b32 v17, v18, v15
	ds_bpermute_b32 v18, v18, v16
	s_and_saveexec_b32 s23, s1
	s_cbranch_execz .LBB13_3
; %bb.34:                               ;   in Loop: Header=BB13_5 Depth=1
	v_div_scale_f64 v[19:20], null, v[13:14], v[13:14], 1.0
	v_div_scale_f64 v[31:32], vcc_lo, 1.0, v[13:14], 1.0
	s_waitcnt lgkmcnt(0)
	v_add_f64 v[15:16], v[15:16], v[17:18]
	v_rcp_f64_e32 v[27:28], v[19:20]
	v_add_f64 v[11:12], v[11:12], -v[15:16]
	v_fma_f64 v[29:30], -v[19:20], v[27:28], 1.0
	v_fma_f64 v[27:28], v[27:28], v[29:30], v[27:28]
	v_fma_f64 v[29:30], -v[19:20], v[27:28], 1.0
	v_fma_f64 v[27:28], v[27:28], v[29:30], v[27:28]
	v_mul_f64 v[29:30], v[31:32], v[27:28]
	v_fma_f64 v[19:20], -v[19:20], v[29:30], v[31:32]
	v_div_fmas_f64 v[19:20], v[19:20], v[27:28], v[29:30]
	v_div_fixup_f64 v[13:14], v[19:20], v[13:14], 1.0
	v_mul_f64 v[11:12], v[13:14], v[11:12]
	v_fma_f64 v[6:7], v[11:12], v[11:12], v[6:7]
	global_store_dwordx2 v[9:10], v[11:12], off
	s_branch .LBB13_3
.LBB13_35:
	s_or_b32 exec_lo, exec_lo, s21
.LBB13_36:
	s_or_b32 exec_lo, exec_lo, s20
	v_cmp_eq_u32_e32 vcc_lo, 63, v0
	v_cmp_lt_i32_e64 s0, -1, v4
	s_and_b32 s0, vcc_lo, s0
	s_and_saveexec_b32 s2, s0
	s_cbranch_execz .LBB13_47
; %bb.37:
	v_mov_b32_e32 v5, 0
	v_mul_f64 v[10:11], s[6:7], s[6:7]
	s_mov_b32 s1, exec_lo
	v_lshlrev_b64 v[4:5], 3, v[4:5]
	v_add_co_u32 v4, s0, s8, v4
	v_add_co_ci_u32_e64 v5, null, s9, v5, s0
	global_load_dwordx2 v[8:9], v[4:5], off
	s_waitcnt vmcnt(0)
	v_add_f64 v[6:7], v[8:9], -v[6:7]
	v_cmpx_le_f64_e32 v[6:7], v[10:11]
	s_cbranch_execz .LBB13_42
; %bb.38:
	v_add_nc_u32_e32 v0, s3, v3
	s_mov_b32 s0, exec_lo
	s_brev_b32 s4, -2
.LBB13_39:                              ; =>This Inner Loop Header: Depth=1
	s_ff1_i32_b32 s5, s0
	v_readlane_b32 s6, v0, s5
	s_lshl_b32 s5, 1, s5
	s_andn2_b32 s0, s0, s5
	s_min_i32 s4, s4, s6
	s_cmp_lg_u32 s0, 0
	s_cbranch_scc1 .LBB13_39
; %bb.40:
	v_mbcnt_lo_u32_b32 v0, exec_lo, 0
	s_mov_b32 s5, exec_lo
	v_cmpx_eq_u32_e32 0, v0
	s_xor_b32 s5, exec_lo, s5
	s_cbranch_execz .LBB13_42
; %bb.41:
	v_mov_b32_e32 v0, 0
	v_mov_b32_e32 v8, s4
	global_atomic_smin v0, v8, s[18:19]
.LBB13_42:
	s_or_b32 exec_lo, exec_lo, s1
	v_cmp_gt_f64_e64 s0, 0, v[6:7]
	v_xor_b32_e32 v0, 0x80000000, v7
	v_mov_b32_e32 v8, v6
	v_cmp_eq_f64_e64 s1, 0, v[6:7]
	v_cndmask_b32_e64 v9, v7, v0, s0
	v_cmp_gt_f64_e64 s0, 0x10000000, v[8:9]
	v_cndmask_b32_e64 v0, 0, 0x100, s0
	v_ldexp_f64 v[8:9], v[8:9], v0
	v_cndmask_b32_e64 v0, 0, 0xffffff80, s0
	v_rsq_f64_e32 v[10:11], v[8:9]
	v_cmp_class_f64_e64 s0, v[8:9], 0x260
	v_mul_f64 v[12:13], v[8:9], v[10:11]
	v_mul_f64 v[10:11], v[10:11], 0.5
	v_fma_f64 v[14:15], -v[10:11], v[12:13], 0.5
	v_fma_f64 v[12:13], v[12:13], v[14:15], v[12:13]
	v_fma_f64 v[10:11], v[10:11], v[14:15], v[10:11]
	v_fma_f64 v[14:15], -v[12:13], v[12:13], v[8:9]
	v_fma_f64 v[12:13], v[14:15], v[10:11], v[12:13]
	v_fma_f64 v[14:15], -v[12:13], v[12:13], v[8:9]
	v_fma_f64 v[10:11], v[14:15], v[10:11], v[12:13]
	v_ldexp_f64 v[10:11], v[10:11], v0
	v_cndmask_b32_e64 v7, v11, v9, s0
	v_cndmask_b32_e64 v6, v10, v8, s0
	global_store_dwordx2 v[4:5], v[6:7], off
	s_and_b32 exec_lo, exec_lo, s1
	s_cbranch_execz .LBB13_47
; %bb.43:
	v_add_nc_u32_e32 v0, s3, v3
	s_mov_b32 s0, exec_lo
	s_brev_b32 s1, -2
.LBB13_44:                              ; =>This Inner Loop Header: Depth=1
	s_ff1_i32_b32 s3, s0
	v_readlane_b32 s4, v0, s3
	s_lshl_b32 s3, 1, s3
	s_andn2_b32 s0, s0, s3
	s_min_i32 s1, s1, s4
	s_cmp_lg_u32 s0, 0
	s_cbranch_scc1 .LBB13_44
; %bb.45:
	v_mbcnt_lo_u32_b32 v0, exec_lo, 0
	s_mov_b32 s3, exec_lo
	v_cmpx_eq_u32_e32 0, v0
	s_xor_b32 s3, exec_lo, s3
	s_cbranch_execz .LBB13_47
; %bb.46:
	v_mov_b32_e32 v0, 0
	v_mov_b32_e32 v3, s1
	global_atomic_smin v0, v3, s[16:17]
.LBB13_47:
	s_or_b32 exec_lo, exec_lo, s2
	s_and_b32 exec_lo, exec_lo, vcc_lo
	s_cbranch_execz .LBB13_49
; %bb.48:
	v_add_co_u32 v0, vcc_lo, s12, v1
	v_add_co_ci_u32_e64 v1, null, s13, v2, vcc_lo
	v_mov_b32_e32 v2, 1
	s_waitcnt lgkmcnt(0)
	s_waitcnt_vscnt null, 0x0
	global_store_dword v[0:1], v2, off
.LBB13_49:
	s_endpgm
	.section	.rodata,"a",@progbits
	.p2align	6, 0x0
	.amdhsa_kernel _ZN9rocsparseL23csric0_binsearch_kernelILj256ELj64ELb1EdEEviPKiS2_PT2_S2_PiS2_S5_S5_d21rocsparse_index_base_
		.amdhsa_group_segment_fixed_size 0
		.amdhsa_private_segment_fixed_size 0
		.amdhsa_kernarg_size 84
		.amdhsa_user_sgpr_count 6
		.amdhsa_user_sgpr_private_segment_buffer 1
		.amdhsa_user_sgpr_dispatch_ptr 0
		.amdhsa_user_sgpr_queue_ptr 0
		.amdhsa_user_sgpr_kernarg_segment_ptr 1
		.amdhsa_user_sgpr_dispatch_id 0
		.amdhsa_user_sgpr_flat_scratch_init 0
		.amdhsa_user_sgpr_private_segment_size 0
		.amdhsa_wavefront_size32 1
		.amdhsa_uses_dynamic_stack 0
		.amdhsa_system_sgpr_private_segment_wavefront_offset 0
		.amdhsa_system_sgpr_workgroup_id_x 1
		.amdhsa_system_sgpr_workgroup_id_y 0
		.amdhsa_system_sgpr_workgroup_id_z 0
		.amdhsa_system_sgpr_workgroup_info 0
		.amdhsa_system_vgpr_workitem_id 0
		.amdhsa_next_free_vgpr 33
		.amdhsa_next_free_sgpr 28
		.amdhsa_reserve_vcc 1
		.amdhsa_reserve_flat_scratch 0
		.amdhsa_float_round_mode_32 0
		.amdhsa_float_round_mode_16_64 0
		.amdhsa_float_denorm_mode_32 3
		.amdhsa_float_denorm_mode_16_64 3
		.amdhsa_dx10_clamp 1
		.amdhsa_ieee_mode 1
		.amdhsa_fp16_overflow 0
		.amdhsa_workgroup_processor_mode 1
		.amdhsa_memory_ordered 1
		.amdhsa_forward_progress 1
		.amdhsa_shared_vgpr_count 0
		.amdhsa_exception_fp_ieee_invalid_op 0
		.amdhsa_exception_fp_denorm_src 0
		.amdhsa_exception_fp_ieee_div_zero 0
		.amdhsa_exception_fp_ieee_overflow 0
		.amdhsa_exception_fp_ieee_underflow 0
		.amdhsa_exception_fp_ieee_inexact 0
		.amdhsa_exception_int_div_zero 0
	.end_amdhsa_kernel
	.section	.text._ZN9rocsparseL23csric0_binsearch_kernelILj256ELj64ELb1EdEEviPKiS2_PT2_S2_PiS2_S5_S5_d21rocsparse_index_base_,"axG",@progbits,_ZN9rocsparseL23csric0_binsearch_kernelILj256ELj64ELb1EdEEviPKiS2_PT2_S2_PiS2_S5_S5_d21rocsparse_index_base_,comdat
.Lfunc_end13:
	.size	_ZN9rocsparseL23csric0_binsearch_kernelILj256ELj64ELb1EdEEviPKiS2_PT2_S2_PiS2_S5_S5_d21rocsparse_index_base_, .Lfunc_end13-_ZN9rocsparseL23csric0_binsearch_kernelILj256ELj64ELb1EdEEviPKiS2_PT2_S2_PiS2_S5_S5_d21rocsparse_index_base_
                                        ; -- End function
	.set _ZN9rocsparseL23csric0_binsearch_kernelILj256ELj64ELb1EdEEviPKiS2_PT2_S2_PiS2_S5_S5_d21rocsparse_index_base_.num_vgpr, 33
	.set _ZN9rocsparseL23csric0_binsearch_kernelILj256ELj64ELb1EdEEviPKiS2_PT2_S2_PiS2_S5_S5_d21rocsparse_index_base_.num_agpr, 0
	.set _ZN9rocsparseL23csric0_binsearch_kernelILj256ELj64ELb1EdEEviPKiS2_PT2_S2_PiS2_S5_S5_d21rocsparse_index_base_.numbered_sgpr, 28
	.set _ZN9rocsparseL23csric0_binsearch_kernelILj256ELj64ELb1EdEEviPKiS2_PT2_S2_PiS2_S5_S5_d21rocsparse_index_base_.num_named_barrier, 0
	.set _ZN9rocsparseL23csric0_binsearch_kernelILj256ELj64ELb1EdEEviPKiS2_PT2_S2_PiS2_S5_S5_d21rocsparse_index_base_.private_seg_size, 0
	.set _ZN9rocsparseL23csric0_binsearch_kernelILj256ELj64ELb1EdEEviPKiS2_PT2_S2_PiS2_S5_S5_d21rocsparse_index_base_.uses_vcc, 1
	.set _ZN9rocsparseL23csric0_binsearch_kernelILj256ELj64ELb1EdEEviPKiS2_PT2_S2_PiS2_S5_S5_d21rocsparse_index_base_.uses_flat_scratch, 0
	.set _ZN9rocsparseL23csric0_binsearch_kernelILj256ELj64ELb1EdEEviPKiS2_PT2_S2_PiS2_S5_S5_d21rocsparse_index_base_.has_dyn_sized_stack, 0
	.set _ZN9rocsparseL23csric0_binsearch_kernelILj256ELj64ELb1EdEEviPKiS2_PT2_S2_PiS2_S5_S5_d21rocsparse_index_base_.has_recursion, 0
	.set _ZN9rocsparseL23csric0_binsearch_kernelILj256ELj64ELb1EdEEviPKiS2_PT2_S2_PiS2_S5_S5_d21rocsparse_index_base_.has_indirect_call, 0
	.section	.AMDGPU.csdata,"",@progbits
; Kernel info:
; codeLenInByte = 2276
; TotalNumSgprs: 30
; NumVgprs: 33
; ScratchSize: 0
; MemoryBound: 1
; FloatMode: 240
; IeeeMode: 1
; LDSByteSize: 0 bytes/workgroup (compile time only)
; SGPRBlocks: 0
; VGPRBlocks: 4
; NumSGPRsForWavesPerEU: 30
; NumVGPRsForWavesPerEU: 33
; Occupancy: 16
; WaveLimiterHint : 1
; COMPUTE_PGM_RSRC2:SCRATCH_EN: 0
; COMPUTE_PGM_RSRC2:USER_SGPR: 6
; COMPUTE_PGM_RSRC2:TRAP_HANDLER: 0
; COMPUTE_PGM_RSRC2:TGID_X_EN: 1
; COMPUTE_PGM_RSRC2:TGID_Y_EN: 0
; COMPUTE_PGM_RSRC2:TGID_Z_EN: 0
; COMPUTE_PGM_RSRC2:TIDIG_COMP_CNT: 0
	.section	.text._ZN9rocsparseL18csric0_hash_kernelILj256ELj32ELj1EdEEviPKiS2_PT2_S2_PiS2_S5_S5_d21rocsparse_index_base_,"axG",@progbits,_ZN9rocsparseL18csric0_hash_kernelILj256ELj32ELj1EdEEviPKiS2_PT2_S2_PiS2_S5_S5_d21rocsparse_index_base_,comdat
	.globl	_ZN9rocsparseL18csric0_hash_kernelILj256ELj32ELj1EdEEviPKiS2_PT2_S2_PiS2_S5_S5_d21rocsparse_index_base_ ; -- Begin function _ZN9rocsparseL18csric0_hash_kernelILj256ELj32ELj1EdEEviPKiS2_PT2_S2_PiS2_S5_S5_d21rocsparse_index_base_
	.p2align	8
	.type	_ZN9rocsparseL18csric0_hash_kernelILj256ELj32ELj1EdEEviPKiS2_PT2_S2_PiS2_S5_S5_d21rocsparse_index_base_,@function
_ZN9rocsparseL18csric0_hash_kernelILj256ELj32ELj1EdEEviPKiS2_PT2_S2_PiS2_S5_S5_d21rocsparse_index_base_: ; @_ZN9rocsparseL18csric0_hash_kernelILj256ELj32ELj1EdEEviPKiS2_PT2_S2_PiS2_S5_S5_d21rocsparse_index_base_
; %bb.0:
	s_load_dword s0, s[4:5], 0x0
	v_and_b32_e32 v6, 0xe0, v0
	v_lshrrev_b32_e32 v1, 5, v0
	s_lshl_b32 s1, s6, 3
	v_and_b32_e32 v19, 31, v0
	v_mov_b32_e32 v2, -1
	v_lshl_or_b32 v20, v6, 2, 0x400
	v_and_or_b32 v0, 0x7fffff8, s1, v1
	v_lshl_or_b32 v1, v19, 2, v20
	ds_write_b32 v1, v2
	s_waitcnt lgkmcnt(0)
	buffer_gl0_inv
	v_cmp_gt_i32_e32 vcc_lo, s0, v0
	s_and_saveexec_b32 s0, vcc_lo
	s_cbranch_execz .LBB14_46
; %bb.1:
	s_load_dwordx8 s[8:15], s[4:5], 0x28
	v_lshlrev_b32_e32 v0, 2, v0
	s_clause 0x1
	s_load_dwordx8 s[16:23], s[4:5], 0x8
	s_load_dword s2, s[4:5], 0x50
	v_lshlrev_b32_e32 v21, 2, v6
	s_mov_b32 s0, exec_lo
	s_waitcnt lgkmcnt(0)
	global_load_dword v2, v0, s[10:11]
	s_waitcnt vmcnt(0)
	v_ashrrev_i32_e32 v3, 31, v2
	v_lshlrev_b64 v[0:1], 2, v[2:3]
	v_add_co_u32 v3, vcc_lo, s16, v0
	v_add_co_ci_u32_e64 v4, null, s17, v1, vcc_lo
	v_add_co_u32 v7, vcc_lo, s22, v0
	v_add_co_ci_u32_e64 v8, null, s23, v1, vcc_lo
	global_load_dwordx2 v[4:5], v[3:4], off
	global_load_dword v3, v[7:8], off
	s_waitcnt vmcnt(1)
	v_subrev_nc_u32_e32 v4, s2, v4
	v_subrev_nc_u32_e32 v7, s2, v5
	v_add_nc_u32_e32 v5, v4, v19
	v_cmpx_lt_i32_e64 v5, v7
	s_cbranch_execz .LBB14_11
; %bb.2:
	v_mov_b32_e32 v8, -1
	s_mov_b32 s1, 0
	s_branch .LBB14_4
.LBB14_3:                               ;   in Loop: Header=BB14_4 Depth=1
	s_or_b32 exec_lo, exec_lo, s3
	v_add_nc_u32_e32 v5, 32, v5
	v_cmp_ge_i32_e32 vcc_lo, v5, v7
	s_or_b32 s1, vcc_lo, s1
	s_andn2_b32 exec_lo, exec_lo, s1
	s_cbranch_execz .LBB14_11
.LBB14_4:                               ; =>This Loop Header: Depth=1
                                        ;     Child Loop BB14_7 Depth 2
	v_ashrrev_i32_e32 v6, 31, v5
	s_mov_b32 s3, exec_lo
	v_lshlrev_b64 v[9:10], 2, v[5:6]
	v_add_co_u32 v9, vcc_lo, s18, v9
	v_add_co_ci_u32_e64 v10, null, s19, v10, vcc_lo
	global_load_dword v6, v[9:10], off
	s_waitcnt vmcnt(0)
	v_mul_lo_u32 v9, v6, 7
	v_and_b32_e32 v9, 31, v9
	v_lshl_add_u32 v10, v9, 2, v20
	ds_read_b32 v11, v10
	s_waitcnt lgkmcnt(0)
	v_cmpx_ne_u32_e64 v11, v6
	s_cbranch_execz .LBB14_3
; %bb.5:                                ;   in Loop: Header=BB14_4 Depth=1
	s_mov_b32 s6, 0
                                        ; implicit-def: $sgpr7
                                        ; implicit-def: $sgpr11
                                        ; implicit-def: $sgpr10
	s_inst_prefetch 0x1
	s_branch .LBB14_7
	.p2align	6
.LBB14_6:                               ;   in Loop: Header=BB14_7 Depth=2
	s_or_b32 exec_lo, exec_lo, s24
	s_and_b32 s24, exec_lo, s11
	s_or_b32 s6, s24, s6
	s_andn2_b32 s7, s7, exec_lo
	s_and_b32 s24, s10, exec_lo
	s_or_b32 s7, s7, s24
	s_andn2_b32 exec_lo, exec_lo, s6
	s_cbranch_execz .LBB14_9
.LBB14_7:                               ;   Parent Loop BB14_4 Depth=1
                                        ; =>  This Inner Loop Header: Depth=2
	ds_cmpst_rtn_b32 v10, v10, v8, v6
	v_mov_b32_e32 v11, v9
	s_or_b32 s10, s10, exec_lo
	s_or_b32 s11, s11, exec_lo
                                        ; implicit-def: $vgpr9
	s_waitcnt lgkmcnt(0)
	v_cmp_ne_u32_e32 vcc_lo, -1, v10
                                        ; implicit-def: $vgpr10
	s_and_saveexec_b32 s24, vcc_lo
	s_cbranch_execz .LBB14_6
; %bb.8:                                ;   in Loop: Header=BB14_7 Depth=2
	v_add_nc_u32_e32 v9, 1, v11
	s_andn2_b32 s11, s11, exec_lo
	s_andn2_b32 s10, s10, exec_lo
	v_and_b32_e32 v9, 31, v9
	v_lshl_add_u32 v10, v9, 2, v20
	ds_read_b32 v12, v10
	s_waitcnt lgkmcnt(0)
	v_cmp_eq_u32_e32 vcc_lo, v12, v6
	s_and_b32 s25, vcc_lo, exec_lo
	s_or_b32 s11, s11, s25
	s_branch .LBB14_6
.LBB14_9:                               ;   in Loop: Header=BB14_4 Depth=1
	s_inst_prefetch 0x2
	s_or_b32 exec_lo, exec_lo, s6
	s_and_saveexec_b32 s6, s7
	s_xor_b32 s6, exec_lo, s6
	s_cbranch_execz .LBB14_3
; %bb.10:                               ;   in Loop: Header=BB14_4 Depth=1
	v_lshl_add_u32 v6, v11, 2, v21
	ds_write_b32 v6, v5
	s_branch .LBB14_3
.LBB14_11:
	s_or_b32 exec_lo, exec_lo, s0
	v_mov_b32_e32 v6, 0
	v_mov_b32_e32 v7, 0
	s_mov_b32 s3, exec_lo
	s_waitcnt vmcnt(0) lgkmcnt(0)
	buffer_gl0_inv
	v_cmpx_lt_i32_e64 v4, v3
	s_cbranch_execz .LBB14_33
; %bb.12:
	v_mov_b32_e32 v6, 0
	v_add_nc_u32_e32 v22, -1, v3
	v_subrev_nc_u32_e32 v23, s2, v19
	v_cmp_eq_u32_e64 s0, 31, v19
	v_mov_b32_e32 v7, 0
	v_mbcnt_lo_u32_b32 v24, -1, 0
	s_mov_b32 s6, 0
	s_branch .LBB14_15
.LBB14_13:                              ;   in Loop: Header=BB14_15 Depth=1
	s_or_b32 exec_lo, exec_lo, s10
.LBB14_14:                              ;   in Loop: Header=BB14_15 Depth=1
	s_or_b32 exec_lo, exec_lo, s7
	v_add_nc_u32_e32 v4, 1, v4
	s_xor_b32 s1, s1, -1
	v_cmp_ge_i32_e32 vcc_lo, v4, v3
	s_or_b32 s1, s1, vcc_lo
	s_and_b32 s1, exec_lo, s1
	s_or_b32 s6, s1, s6
	s_andn2_b32 exec_lo, exec_lo, s6
	s_cbranch_execz .LBB14_32
.LBB14_15:                              ; =>This Loop Header: Depth=1
                                        ;     Child Loop BB14_16 Depth 2
                                        ;     Child Loop BB14_22 Depth 2
                                        ;       Child Loop BB14_25 Depth 3
	v_ashrrev_i32_e32 v5, 31, v4
	s_mov_b32 s1, 0
	v_lshlrev_b64 v[8:9], 2, v[4:5]
	v_lshlrev_b64 v[10:11], 3, v[4:5]
	v_add_co_u32 v8, vcc_lo, s18, v8
	v_add_co_ci_u32_e64 v9, null, s19, v9, vcc_lo
	global_load_dword v8, v[8:9], off
	s_waitcnt vmcnt(0)
	v_subrev_nc_u32_e32 v8, s2, v8
	v_ashrrev_i32_e32 v9, 31, v8
	v_lshlrev_b64 v[12:13], 2, v[8:9]
	v_add_co_u32 v8, vcc_lo, s20, v10
	v_add_co_ci_u32_e64 v9, null, s21, v11, vcc_lo
	v_add_co_u32 v14, vcc_lo, s16, v12
	v_add_co_ci_u32_e64 v15, null, s17, v13, vcc_lo
	s_waitcnt lgkmcnt(1)
	v_add_co_u32 v16, vcc_lo, s22, v12
	s_waitcnt lgkmcnt(0)
	v_add_co_ci_u32_e64 v17, null, s23, v13, vcc_lo
	global_load_dwordx2 v[10:11], v[8:9], off
	global_load_dword v5, v[14:15], off
	global_load_dword v14, v[16:17], off
	v_add_co_u32 v12, vcc_lo, s8, v12
	v_add_co_ci_u32_e64 v13, null, s9, v13, vcc_lo
.LBB14_16:                              ;   Parent Loop BB14_15 Depth=1
                                        ; =>  This Inner Loop Header: Depth=2
	global_load_dword v15, v[12:13], off glc dlc
	s_waitcnt vmcnt(0)
	v_cmp_ne_u32_e32 vcc_lo, 0, v15
	s_or_b32 s1, vcc_lo, s1
	s_andn2_b32 exec_lo, exec_lo, s1
	s_cbranch_execnz .LBB14_16
; %bb.17:                               ;   in Loop: Header=BB14_15 Depth=1
	s_or_b32 exec_lo, exec_lo, s1
	v_cmp_eq_u32_e32 vcc_lo, -1, v14
	buffer_gl1_inv
	buffer_gl0_inv
	v_cndmask_b32_e32 v14, v14, v22, vcc_lo
	v_ashrrev_i32_e32 v15, 31, v14
	v_lshlrev_b64 v[12:13], 3, v[14:15]
	v_add_co_u32 v12, vcc_lo, s20, v12
	v_add_co_ci_u32_e64 v13, null, s21, v13, vcc_lo
	global_load_dwordx2 v[12:13], v[12:13], off
	s_waitcnt vmcnt(0)
	v_cmp_neq_f64_e64 s1, 0, v[12:13]
	s_and_saveexec_b32 s7, s1
	s_cbranch_execz .LBB14_14
; %bb.18:                               ;   in Loop: Header=BB14_15 Depth=1
	v_mov_b32_e32 v15, 0
	v_add_nc_u32_e32 v17, v23, v5
	v_mov_b32_e32 v16, 0
	s_mov_b32 s10, exec_lo
	v_cmpx_lt_i32_e64 v17, v14
	s_cbranch_execz .LBB14_30
; %bb.19:                               ;   in Loop: Header=BB14_15 Depth=1
	v_mov_b32_e32 v15, 0
	v_mov_b32_e32 v16, 0
	s_mov_b32 s11, 0
	s_branch .LBB14_22
.LBB14_20:                              ;   in Loop: Header=BB14_22 Depth=2
	s_or_b32 exec_lo, exec_lo, s25
.LBB14_21:                              ;   in Loop: Header=BB14_22 Depth=2
	s_or_b32 exec_lo, exec_lo, s24
	v_add_nc_u32_e32 v17, 32, v17
	v_cmp_ge_i32_e32 vcc_lo, v17, v14
	s_or_b32 s11, vcc_lo, s11
	s_andn2_b32 exec_lo, exec_lo, s11
	s_cbranch_execz .LBB14_29
.LBB14_22:                              ;   Parent Loop BB14_15 Depth=1
                                        ; =>  This Loop Header: Depth=2
                                        ;       Child Loop BB14_25 Depth 3
	v_ashrrev_i32_e32 v18, 31, v17
	s_mov_b32 s24, exec_lo
	v_lshlrev_b64 v[25:26], 2, v[17:18]
	v_add_co_u32 v25, vcc_lo, s18, v25
	v_add_co_ci_u32_e64 v26, null, s19, v26, vcc_lo
	global_load_dword v5, v[25:26], off
	s_waitcnt vmcnt(0)
	v_mul_lo_u32 v25, v5, 7
	v_and_b32_e32 v27, 31, v25
	v_lshl_add_u32 v25, v27, 2, v20
	ds_read_b32 v26, v25
	s_waitcnt lgkmcnt(0)
	v_cmpx_ne_u32_e32 -1, v26
	s_cbranch_execz .LBB14_21
; %bb.23:                               ;   in Loop: Header=BB14_22 Depth=2
	s_mov_b32 s25, 0
                                        ; implicit-def: $sgpr26
                                        ; implicit-def: $sgpr28
                                        ; implicit-def: $sgpr27
	s_inst_prefetch 0x1
	s_branch .LBB14_25
	.p2align	6
.LBB14_24:                              ;   in Loop: Header=BB14_25 Depth=3
	s_or_b32 exec_lo, exec_lo, s29
	s_and_b32 s29, exec_lo, s28
	s_or_b32 s25, s29, s25
	s_andn2_b32 s26, s26, exec_lo
	s_and_b32 s29, s27, exec_lo
	s_or_b32 s26, s26, s29
	s_andn2_b32 exec_lo, exec_lo, s25
	s_cbranch_execz .LBB14_27
.LBB14_25:                              ;   Parent Loop BB14_15 Depth=1
                                        ;     Parent Loop BB14_22 Depth=2
                                        ; =>    This Inner Loop Header: Depth=3
	v_mov_b32_e32 v25, v27
	v_cmp_ne_u32_e32 vcc_lo, v26, v5
	s_or_b32 s27, s27, exec_lo
	s_or_b32 s28, s28, exec_lo
                                        ; implicit-def: $vgpr27
                                        ; implicit-def: $vgpr26
	s_and_saveexec_b32 s29, vcc_lo
	s_cbranch_execz .LBB14_24
; %bb.26:                               ;   in Loop: Header=BB14_25 Depth=3
	v_add_nc_u32_e32 v26, 1, v25
	s_andn2_b32 s28, s28, exec_lo
	s_andn2_b32 s27, s27, exec_lo
	v_and_b32_e32 v27, 31, v26
	v_lshl_add_u32 v26, v27, 2, v20
	ds_read_b32 v26, v26
	s_waitcnt lgkmcnt(0)
	v_cmp_eq_u32_e32 vcc_lo, -1, v26
	s_and_b32 s30, vcc_lo, exec_lo
	s_or_b32 s28, s28, s30
	s_branch .LBB14_24
.LBB14_27:                              ;   in Loop: Header=BB14_22 Depth=2
	s_inst_prefetch 0x2
	s_or_b32 exec_lo, exec_lo, s25
	s_and_saveexec_b32 s25, s26
	s_xor_b32 s25, exec_lo, s25
	s_cbranch_execz .LBB14_20
; %bb.28:                               ;   in Loop: Header=BB14_22 Depth=2
	v_lshl_add_u32 v5, v25, 2, v21
	v_lshlrev_b64 v[27:28], 3, v[17:18]
	ds_read_b32 v25, v5
	v_add_co_u32 v27, vcc_lo, s20, v27
	v_add_co_ci_u32_e64 v28, null, s21, v28, vcc_lo
	s_waitcnt lgkmcnt(0)
	v_ashrrev_i32_e32 v26, 31, v25
	v_lshlrev_b64 v[25:26], 3, v[25:26]
	v_add_co_u32 v25, vcc_lo, s20, v25
	v_add_co_ci_u32_e64 v26, null, s21, v26, vcc_lo
	s_clause 0x1
	global_load_dwordx2 v[27:28], v[27:28], off
	global_load_dwordx2 v[25:26], v[25:26], off
	s_waitcnt vmcnt(0)
	v_fma_f64 v[15:16], v[27:28], v[25:26], v[15:16]
	s_branch .LBB14_20
.LBB14_29:                              ;   in Loop: Header=BB14_15 Depth=1
	s_or_b32 exec_lo, exec_lo, s11
.LBB14_30:                              ;   in Loop: Header=BB14_15 Depth=1
	s_or_b32 exec_lo, exec_lo, s10
	v_xor_b32_e32 v5, 16, v24
	v_cmp_gt_i32_e32 vcc_lo, 32, v5
	v_cndmask_b32_e32 v5, v24, v5, vcc_lo
	v_lshlrev_b32_e32 v5, 2, v5
	ds_bpermute_b32 v17, v5, v15
	ds_bpermute_b32 v18, v5, v16
	v_xor_b32_e32 v5, 8, v24
	v_cmp_gt_i32_e32 vcc_lo, 32, v5
	v_cndmask_b32_e32 v5, v24, v5, vcc_lo
	v_lshlrev_b32_e32 v5, 2, v5
	s_waitcnt lgkmcnt(0)
	v_add_f64 v[14:15], v[15:16], v[17:18]
	ds_bpermute_b32 v16, v5, v14
	ds_bpermute_b32 v17, v5, v15
	v_xor_b32_e32 v5, 4, v24
	v_cmp_gt_i32_e32 vcc_lo, 32, v5
	v_cndmask_b32_e32 v5, v24, v5, vcc_lo
	v_lshlrev_b32_e32 v5, 2, v5
	s_waitcnt lgkmcnt(0)
	v_add_f64 v[14:15], v[14:15], v[16:17]
	;; [unrolled: 8-line block ×4, first 2 shown]
	ds_bpermute_b32 v16, v5, v14
	ds_bpermute_b32 v17, v5, v15
	s_and_saveexec_b32 s10, s0
	s_cbranch_execz .LBB14_13
; %bb.31:                               ;   in Loop: Header=BB14_15 Depth=1
	v_div_scale_f64 v[25:26], null, v[12:13], v[12:13], 1.0
	v_div_scale_f64 v[31:32], vcc_lo, 1.0, v[12:13], 1.0
	s_waitcnt lgkmcnt(0)
	v_add_f64 v[14:15], v[14:15], v[16:17]
	v_rcp_f64_e32 v[27:28], v[25:26]
	v_add_f64 v[10:11], v[10:11], -v[14:15]
	v_fma_f64 v[29:30], -v[25:26], v[27:28], 1.0
	v_fma_f64 v[27:28], v[27:28], v[29:30], v[27:28]
	v_fma_f64 v[29:30], -v[25:26], v[27:28], 1.0
	v_fma_f64 v[27:28], v[27:28], v[29:30], v[27:28]
	v_mul_f64 v[29:30], v[31:32], v[27:28]
	v_fma_f64 v[25:26], -v[25:26], v[29:30], v[31:32]
	v_div_fmas_f64 v[25:26], v[25:26], v[27:28], v[29:30]
	v_div_fixup_f64 v[12:13], v[25:26], v[12:13], 1.0
	v_mul_f64 v[10:11], v[12:13], v[10:11]
	v_fma_f64 v[6:7], v[10:11], v[10:11], v[6:7]
	global_store_dwordx2 v[8:9], v[10:11], off
	s_branch .LBB14_13
.LBB14_32:
	s_or_b32 exec_lo, exec_lo, s6
.LBB14_33:
	s_or_b32 exec_lo, exec_lo, s3
	v_cmp_eq_u32_e32 vcc_lo, 31, v19
	v_cmp_lt_i32_e64 s0, -1, v3
	s_and_b32 s0, vcc_lo, s0
	s_and_saveexec_b32 s3, s0
	s_cbranch_execz .LBB14_44
; %bb.34:
	v_mov_b32_e32 v4, 0
	v_add_nc_u32_e32 v2, s2, v2
	v_lshlrev_b64 v[3:4], 3, v[3:4]
	v_add_co_u32 v3, s0, s20, v3
	v_add_co_ci_u32_e64 v4, null, s21, v4, s0
	s_load_dwordx2 s[0:1], s[4:5], 0x48
	global_load_dwordx2 v[8:9], v[3:4], off
	s_waitcnt lgkmcnt(0)
	v_mul_f64 v[10:11], s[0:1], s[0:1]
	s_mov_b32 s1, exec_lo
	s_waitcnt vmcnt(0)
	v_add_f64 v[5:6], v[8:9], -v[6:7]
	v_cmpx_le_f64_e32 v[5:6], v[10:11]
	s_cbranch_execz .LBB14_39
; %bb.35:
	s_mov_b32 s0, exec_lo
	s_brev_b32 s2, -2
.LBB14_36:                              ; =>This Inner Loop Header: Depth=1
	s_ff1_i32_b32 s4, s0
	v_readlane_b32 s5, v2, s4
	s_lshl_b32 s4, 1, s4
	s_andn2_b32 s0, s0, s4
	s_min_i32 s2, s2, s5
	s_cmp_lg_u32 s0, 0
	s_cbranch_scc1 .LBB14_36
; %bb.37:
	v_mbcnt_lo_u32_b32 v7, exec_lo, 0
	s_mov_b32 s4, exec_lo
	v_cmpx_eq_u32_e32 0, v7
	s_xor_b32 s4, exec_lo, s4
	s_cbranch_execz .LBB14_39
; %bb.38:
	v_mov_b32_e32 v7, 0
	v_mov_b32_e32 v8, s2
	global_atomic_smin v7, v8, s[14:15]
.LBB14_39:
	s_or_b32 exec_lo, exec_lo, s1
	v_cmp_gt_f64_e64 s0, 0, v[5:6]
	v_xor_b32_e32 v8, 0x80000000, v6
	v_mov_b32_e32 v7, v5
	v_cmp_eq_f64_e64 s1, 0, v[5:6]
	v_cndmask_b32_e64 v8, v6, v8, s0
	v_cmp_gt_f64_e64 s0, 0x10000000, v[7:8]
	v_cndmask_b32_e64 v9, 0, 0x100, s0
	v_ldexp_f64 v[7:8], v[7:8], v9
	v_rsq_f64_e32 v[9:10], v[7:8]
	v_mul_f64 v[11:12], v[7:8], v[9:10]
	v_mul_f64 v[9:10], v[9:10], 0.5
	v_fma_f64 v[13:14], -v[9:10], v[11:12], 0.5
	v_fma_f64 v[11:12], v[11:12], v[13:14], v[11:12]
	v_fma_f64 v[9:10], v[9:10], v[13:14], v[9:10]
	v_fma_f64 v[13:14], -v[11:12], v[11:12], v[7:8]
	v_fma_f64 v[11:12], v[13:14], v[9:10], v[11:12]
	v_fma_f64 v[13:14], -v[11:12], v[11:12], v[7:8]
	v_fma_f64 v[9:10], v[13:14], v[9:10], v[11:12]
	v_cndmask_b32_e64 v11, 0, 0xffffff80, s0
	v_cmp_class_f64_e64 s0, v[7:8], 0x260
	v_ldexp_f64 v[9:10], v[9:10], v11
	v_cndmask_b32_e64 v6, v10, v8, s0
	v_cndmask_b32_e64 v5, v9, v7, s0
	global_store_dwordx2 v[3:4], v[5:6], off
	s_and_b32 exec_lo, exec_lo, s1
	s_cbranch_execz .LBB14_44
; %bb.40:
	s_mov_b32 s0, exec_lo
	s_brev_b32 s1, -2
.LBB14_41:                              ; =>This Inner Loop Header: Depth=1
	s_ff1_i32_b32 s2, s0
	v_readlane_b32 s4, v2, s2
	s_lshl_b32 s2, 1, s2
	s_andn2_b32 s0, s0, s2
	s_min_i32 s1, s1, s4
	s_cmp_lg_u32 s0, 0
	s_cbranch_scc1 .LBB14_41
; %bb.42:
	v_mbcnt_lo_u32_b32 v2, exec_lo, 0
	s_mov_b32 s2, exec_lo
	v_cmpx_eq_u32_e32 0, v2
	s_xor_b32 s2, exec_lo, s2
	s_cbranch_execz .LBB14_44
; %bb.43:
	v_mov_b32_e32 v2, 0
	v_mov_b32_e32 v3, s1
	global_atomic_smin v2, v3, s[12:13]
.LBB14_44:
	s_or_b32 exec_lo, exec_lo, s3
	s_and_b32 exec_lo, exec_lo, vcc_lo
	s_cbranch_execz .LBB14_46
; %bb.45:
	v_add_co_u32 v0, vcc_lo, s8, v0
	v_add_co_ci_u32_e64 v1, null, s9, v1, vcc_lo
	v_mov_b32_e32 v2, 1
	s_waitcnt lgkmcnt(0)
	s_waitcnt_vscnt null, 0x0
	global_store_dword v[0:1], v2, off
.LBB14_46:
	s_endpgm
	.section	.rodata,"a",@progbits
	.p2align	6, 0x0
	.amdhsa_kernel _ZN9rocsparseL18csric0_hash_kernelILj256ELj32ELj1EdEEviPKiS2_PT2_S2_PiS2_S5_S5_d21rocsparse_index_base_
		.amdhsa_group_segment_fixed_size 2048
		.amdhsa_private_segment_fixed_size 0
		.amdhsa_kernarg_size 84
		.amdhsa_user_sgpr_count 6
		.amdhsa_user_sgpr_private_segment_buffer 1
		.amdhsa_user_sgpr_dispatch_ptr 0
		.amdhsa_user_sgpr_queue_ptr 0
		.amdhsa_user_sgpr_kernarg_segment_ptr 1
		.amdhsa_user_sgpr_dispatch_id 0
		.amdhsa_user_sgpr_flat_scratch_init 0
		.amdhsa_user_sgpr_private_segment_size 0
		.amdhsa_wavefront_size32 1
		.amdhsa_uses_dynamic_stack 0
		.amdhsa_system_sgpr_private_segment_wavefront_offset 0
		.amdhsa_system_sgpr_workgroup_id_x 1
		.amdhsa_system_sgpr_workgroup_id_y 0
		.amdhsa_system_sgpr_workgroup_id_z 0
		.amdhsa_system_sgpr_workgroup_info 0
		.amdhsa_system_vgpr_workitem_id 0
		.amdhsa_next_free_vgpr 33
		.amdhsa_next_free_sgpr 31
		.amdhsa_reserve_vcc 1
		.amdhsa_reserve_flat_scratch 0
		.amdhsa_float_round_mode_32 0
		.amdhsa_float_round_mode_16_64 0
		.amdhsa_float_denorm_mode_32 3
		.amdhsa_float_denorm_mode_16_64 3
		.amdhsa_dx10_clamp 1
		.amdhsa_ieee_mode 1
		.amdhsa_fp16_overflow 0
		.amdhsa_workgroup_processor_mode 1
		.amdhsa_memory_ordered 1
		.amdhsa_forward_progress 1
		.amdhsa_shared_vgpr_count 0
		.amdhsa_exception_fp_ieee_invalid_op 0
		.amdhsa_exception_fp_denorm_src 0
		.amdhsa_exception_fp_ieee_div_zero 0
		.amdhsa_exception_fp_ieee_overflow 0
		.amdhsa_exception_fp_ieee_underflow 0
		.amdhsa_exception_fp_ieee_inexact 0
		.amdhsa_exception_int_div_zero 0
	.end_amdhsa_kernel
	.section	.text._ZN9rocsparseL18csric0_hash_kernelILj256ELj32ELj1EdEEviPKiS2_PT2_S2_PiS2_S5_S5_d21rocsparse_index_base_,"axG",@progbits,_ZN9rocsparseL18csric0_hash_kernelILj256ELj32ELj1EdEEviPKiS2_PT2_S2_PiS2_S5_S5_d21rocsparse_index_base_,comdat
.Lfunc_end14:
	.size	_ZN9rocsparseL18csric0_hash_kernelILj256ELj32ELj1EdEEviPKiS2_PT2_S2_PiS2_S5_S5_d21rocsparse_index_base_, .Lfunc_end14-_ZN9rocsparseL18csric0_hash_kernelILj256ELj32ELj1EdEEviPKiS2_PT2_S2_PiS2_S5_S5_d21rocsparse_index_base_
                                        ; -- End function
	.set _ZN9rocsparseL18csric0_hash_kernelILj256ELj32ELj1EdEEviPKiS2_PT2_S2_PiS2_S5_S5_d21rocsparse_index_base_.num_vgpr, 33
	.set _ZN9rocsparseL18csric0_hash_kernelILj256ELj32ELj1EdEEviPKiS2_PT2_S2_PiS2_S5_S5_d21rocsparse_index_base_.num_agpr, 0
	.set _ZN9rocsparseL18csric0_hash_kernelILj256ELj32ELj1EdEEviPKiS2_PT2_S2_PiS2_S5_S5_d21rocsparse_index_base_.numbered_sgpr, 31
	.set _ZN9rocsparseL18csric0_hash_kernelILj256ELj32ELj1EdEEviPKiS2_PT2_S2_PiS2_S5_S5_d21rocsparse_index_base_.num_named_barrier, 0
	.set _ZN9rocsparseL18csric0_hash_kernelILj256ELj32ELj1EdEEviPKiS2_PT2_S2_PiS2_S5_S5_d21rocsparse_index_base_.private_seg_size, 0
	.set _ZN9rocsparseL18csric0_hash_kernelILj256ELj32ELj1EdEEviPKiS2_PT2_S2_PiS2_S5_S5_d21rocsparse_index_base_.uses_vcc, 1
	.set _ZN9rocsparseL18csric0_hash_kernelILj256ELj32ELj1EdEEviPKiS2_PT2_S2_PiS2_S5_S5_d21rocsparse_index_base_.uses_flat_scratch, 0
	.set _ZN9rocsparseL18csric0_hash_kernelILj256ELj32ELj1EdEEviPKiS2_PT2_S2_PiS2_S5_S5_d21rocsparse_index_base_.has_dyn_sized_stack, 0
	.set _ZN9rocsparseL18csric0_hash_kernelILj256ELj32ELj1EdEEviPKiS2_PT2_S2_PiS2_S5_S5_d21rocsparse_index_base_.has_recursion, 0
	.set _ZN9rocsparseL18csric0_hash_kernelILj256ELj32ELj1EdEEviPKiS2_PT2_S2_PiS2_S5_S5_d21rocsparse_index_base_.has_indirect_call, 0
	.section	.AMDGPU.csdata,"",@progbits
; Kernel info:
; codeLenInByte = 2284
; TotalNumSgprs: 33
; NumVgprs: 33
; ScratchSize: 0
; MemoryBound: 0
; FloatMode: 240
; IeeeMode: 1
; LDSByteSize: 2048 bytes/workgroup (compile time only)
; SGPRBlocks: 0
; VGPRBlocks: 4
; NumSGPRsForWavesPerEU: 33
; NumVGPRsForWavesPerEU: 33
; Occupancy: 16
; WaveLimiterHint : 1
; COMPUTE_PGM_RSRC2:SCRATCH_EN: 0
; COMPUTE_PGM_RSRC2:USER_SGPR: 6
; COMPUTE_PGM_RSRC2:TRAP_HANDLER: 0
; COMPUTE_PGM_RSRC2:TGID_X_EN: 1
; COMPUTE_PGM_RSRC2:TGID_Y_EN: 0
; COMPUTE_PGM_RSRC2:TGID_Z_EN: 0
; COMPUTE_PGM_RSRC2:TIDIG_COMP_CNT: 0
	.section	.text._ZN9rocsparseL18csric0_hash_kernelILj256ELj32ELj2EdEEviPKiS2_PT2_S2_PiS2_S5_S5_d21rocsparse_index_base_,"axG",@progbits,_ZN9rocsparseL18csric0_hash_kernelILj256ELj32ELj2EdEEviPKiS2_PT2_S2_PiS2_S5_S5_d21rocsparse_index_base_,comdat
	.globl	_ZN9rocsparseL18csric0_hash_kernelILj256ELj32ELj2EdEEviPKiS2_PT2_S2_PiS2_S5_S5_d21rocsparse_index_base_ ; -- Begin function _ZN9rocsparseL18csric0_hash_kernelILj256ELj32ELj2EdEEviPKiS2_PT2_S2_PiS2_S5_S5_d21rocsparse_index_base_
	.p2align	8
	.type	_ZN9rocsparseL18csric0_hash_kernelILj256ELj32ELj2EdEEviPKiS2_PT2_S2_PiS2_S5_S5_d21rocsparse_index_base_,@function
_ZN9rocsparseL18csric0_hash_kernelILj256ELj32ELj2EdEEviPKiS2_PT2_S2_PiS2_S5_S5_d21rocsparse_index_base_: ; @_ZN9rocsparseL18csric0_hash_kernelILj256ELj32ELj2EdEEviPKiS2_PT2_S2_PiS2_S5_S5_d21rocsparse_index_base_
; %bb.0:
	s_clause 0x1
	s_load_dwordx8 s[16:23], s[4:5], 0x8
	s_load_dwordx8 s[8:15], s[4:5], 0x28
	v_lshrrev_b32_e32 v1, 5, v0
	v_and_b32_e32 v20, 31, v0
	s_mov_b32 s0, 0
	v_lshlrev_b32_e32 v3, 8, v1
	v_lshlrev_b32_e32 v4, 2, v20
	v_or_b32_e32 v2, 0xffffffe0, v20
	v_or3_b32 v3, v3, v4, 0x800
	v_mov_b32_e32 v4, -1
.LBB15_1:                               ; =>This Inner Loop Header: Depth=1
	v_add_co_u32 v2, s1, v2, 32
	s_xor_b32 s1, s1, -1
	ds_write_b32 v3, v4
	v_add_nc_u32_e32 v3, 0x80, v3
	s_and_b32 s1, exec_lo, s1
	s_or_b32 s0, s1, s0
	s_andn2_b32 exec_lo, exec_lo, s0
	s_cbranch_execnz .LBB15_1
; %bb.2:
	s_or_b32 exec_lo, exec_lo, s0
	s_load_dword s0, s[4:5], 0x0
	s_lshl_b32 s1, s6, 3
	s_waitcnt lgkmcnt(0)
	buffer_gl0_inv
	v_and_or_b32 v1, 0x7fffff8, s1, v1
	v_cmp_gt_i32_e32 vcc_lo, s0, v1
	s_and_saveexec_b32 s0, vcc_lo
	s_cbranch_execz .LBB15_48
; %bb.3:
	v_lshlrev_b32_e32 v1, 2, v1
	s_load_dword s2, s[4:5], 0x50
	v_lshlrev_b32_e32 v0, 3, v0
	s_mov_b32 s0, exec_lo
	global_load_dword v3, v1, s[10:11]
	v_and_b32_e32 v0, 0x700, v0
	v_or_b32_e32 v21, 0x800, v0
	s_waitcnt vmcnt(0)
	v_ashrrev_i32_e32 v4, 31, v3
	v_lshlrev_b64 v[1:2], 2, v[3:4]
	v_add_co_u32 v4, vcc_lo, s16, v1
	v_add_co_ci_u32_e64 v5, null, s17, v2, vcc_lo
	v_add_co_u32 v7, vcc_lo, s22, v1
	v_add_co_ci_u32_e64 v8, null, s23, v2, vcc_lo
	global_load_dwordx2 v[5:6], v[4:5], off
	global_load_dword v4, v[7:8], off
	s_waitcnt vmcnt(1) lgkmcnt(0)
	v_subrev_nc_u32_e32 v5, s2, v5
	v_subrev_nc_u32_e32 v8, s2, v6
	v_add_nc_u32_e32 v6, v5, v20
	v_cmpx_lt_i32_e64 v6, v8
	s_cbranch_execz .LBB15_13
; %bb.4:
	v_mov_b32_e32 v9, -1
	s_mov_b32 s1, 0
	s_branch .LBB15_6
.LBB15_5:                               ;   in Loop: Header=BB15_6 Depth=1
	s_or_b32 exec_lo, exec_lo, s3
	v_add_nc_u32_e32 v6, 32, v6
	v_cmp_ge_i32_e32 vcc_lo, v6, v8
	s_or_b32 s1, vcc_lo, s1
	s_andn2_b32 exec_lo, exec_lo, s1
	s_cbranch_execz .LBB15_13
.LBB15_6:                               ; =>This Loop Header: Depth=1
                                        ;     Child Loop BB15_9 Depth 2
	v_ashrrev_i32_e32 v7, 31, v6
	s_mov_b32 s3, exec_lo
	v_lshlrev_b64 v[10:11], 2, v[6:7]
	v_add_co_u32 v10, vcc_lo, s18, v10
	v_add_co_ci_u32_e64 v11, null, s19, v11, vcc_lo
	global_load_dword v7, v[10:11], off
	s_waitcnt vmcnt(0)
	v_mul_lo_u32 v10, v7, 39
	v_and_b32_e32 v10, 63, v10
	v_lshl_add_u32 v11, v10, 2, v21
	ds_read_b32 v12, v11
	s_waitcnt lgkmcnt(0)
	v_cmpx_ne_u32_e64 v12, v7
	s_cbranch_execz .LBB15_5
; %bb.7:                                ;   in Loop: Header=BB15_6 Depth=1
	s_mov_b32 s6, 0
                                        ; implicit-def: $sgpr7
                                        ; implicit-def: $sgpr11
                                        ; implicit-def: $sgpr10
	s_inst_prefetch 0x1
	s_branch .LBB15_9
	.p2align	6
.LBB15_8:                               ;   in Loop: Header=BB15_9 Depth=2
	s_or_b32 exec_lo, exec_lo, s24
	s_and_b32 s24, exec_lo, s11
	s_or_b32 s6, s24, s6
	s_andn2_b32 s7, s7, exec_lo
	s_and_b32 s24, s10, exec_lo
	s_or_b32 s7, s7, s24
	s_andn2_b32 exec_lo, exec_lo, s6
	s_cbranch_execz .LBB15_11
.LBB15_9:                               ;   Parent Loop BB15_6 Depth=1
                                        ; =>  This Inner Loop Header: Depth=2
	ds_cmpst_rtn_b32 v11, v11, v9, v7
	v_mov_b32_e32 v12, v10
	s_or_b32 s10, s10, exec_lo
	s_or_b32 s11, s11, exec_lo
                                        ; implicit-def: $vgpr10
	s_waitcnt lgkmcnt(0)
	v_cmp_ne_u32_e32 vcc_lo, -1, v11
                                        ; implicit-def: $vgpr11
	s_and_saveexec_b32 s24, vcc_lo
	s_cbranch_execz .LBB15_8
; %bb.10:                               ;   in Loop: Header=BB15_9 Depth=2
	v_add_nc_u32_e32 v10, 1, v12
	s_andn2_b32 s11, s11, exec_lo
	s_andn2_b32 s10, s10, exec_lo
	v_and_b32_e32 v10, 63, v10
	v_lshl_add_u32 v11, v10, 2, v21
	ds_read_b32 v13, v11
	s_waitcnt lgkmcnt(0)
	v_cmp_eq_u32_e32 vcc_lo, v13, v7
	s_and_b32 s25, vcc_lo, exec_lo
	s_or_b32 s11, s11, s25
	s_branch .LBB15_8
.LBB15_11:                              ;   in Loop: Header=BB15_6 Depth=1
	s_inst_prefetch 0x2
	s_or_b32 exec_lo, exec_lo, s6
	s_and_saveexec_b32 s6, s7
	s_xor_b32 s6, exec_lo, s6
	s_cbranch_execz .LBB15_5
; %bb.12:                               ;   in Loop: Header=BB15_6 Depth=1
	v_lshl_add_u32 v7, v12, 2, v0
	ds_write_b32 v7, v6
	s_branch .LBB15_5
.LBB15_13:
	s_or_b32 exec_lo, exec_lo, s0
	v_mov_b32_e32 v7, 0
	v_mov_b32_e32 v8, 0
	s_mov_b32 s3, exec_lo
	s_waitcnt vmcnt(0) lgkmcnt(0)
	buffer_gl0_inv
	v_cmpx_lt_i32_e64 v5, v4
	s_cbranch_execz .LBB15_35
; %bb.14:
	v_mbcnt_lo_u32_b32 v22, -1, 0
	v_mov_b32_e32 v7, 0
	v_add_nc_u32_e32 v23, -1, v4
	v_subrev_nc_u32_e32 v24, s2, v20
	v_cmp_eq_u32_e64 s0, 31, v20
	v_mov_b32_e32 v8, 0
	v_xor_b32_e32 v25, 16, v22
	v_xor_b32_e32 v26, 8, v22
	;; [unrolled: 1-line block ×5, first 2 shown]
	s_mov_b32 s6, 0
	s_branch .LBB15_17
.LBB15_15:                              ;   in Loop: Header=BB15_17 Depth=1
	s_or_b32 exec_lo, exec_lo, s10
.LBB15_16:                              ;   in Loop: Header=BB15_17 Depth=1
	s_or_b32 exec_lo, exec_lo, s7
	v_add_nc_u32_e32 v5, 1, v5
	s_xor_b32 s1, s1, -1
	v_cmp_ge_i32_e32 vcc_lo, v5, v4
	s_or_b32 s1, s1, vcc_lo
	s_and_b32 s1, exec_lo, s1
	s_or_b32 s6, s1, s6
	s_andn2_b32 exec_lo, exec_lo, s6
	s_cbranch_execz .LBB15_34
.LBB15_17:                              ; =>This Loop Header: Depth=1
                                        ;     Child Loop BB15_18 Depth 2
                                        ;     Child Loop BB15_24 Depth 2
                                        ;       Child Loop BB15_27 Depth 3
	v_ashrrev_i32_e32 v6, 31, v5
	s_mov_b32 s1, 0
	v_lshlrev_b64 v[9:10], 2, v[5:6]
	v_lshlrev_b64 v[11:12], 3, v[5:6]
	v_add_co_u32 v9, vcc_lo, s18, v9
	v_add_co_ci_u32_e64 v10, null, s19, v10, vcc_lo
	global_load_dword v9, v[9:10], off
	s_waitcnt vmcnt(0)
	v_subrev_nc_u32_e32 v9, s2, v9
	v_ashrrev_i32_e32 v10, 31, v9
	v_lshlrev_b64 v[13:14], 2, v[9:10]
	v_add_co_u32 v9, vcc_lo, s20, v11
	v_add_co_ci_u32_e64 v10, null, s21, v12, vcc_lo
	v_add_co_u32 v15, vcc_lo, s16, v13
	v_add_co_ci_u32_e64 v16, null, s17, v14, vcc_lo
	s_waitcnt lgkmcnt(1)
	v_add_co_u32 v17, vcc_lo, s22, v13
	s_waitcnt lgkmcnt(0)
	v_add_co_ci_u32_e64 v18, null, s23, v14, vcc_lo
	global_load_dwordx2 v[11:12], v[9:10], off
	global_load_dword v6, v[15:16], off
	global_load_dword v15, v[17:18], off
	v_add_co_u32 v13, vcc_lo, s8, v13
	v_add_co_ci_u32_e64 v14, null, s9, v14, vcc_lo
.LBB15_18:                              ;   Parent Loop BB15_17 Depth=1
                                        ; =>  This Inner Loop Header: Depth=2
	global_load_dword v16, v[13:14], off glc dlc
	s_waitcnt vmcnt(0)
	v_cmp_ne_u32_e32 vcc_lo, 0, v16
	s_or_b32 s1, vcc_lo, s1
	s_andn2_b32 exec_lo, exec_lo, s1
	s_cbranch_execnz .LBB15_18
; %bb.19:                               ;   in Loop: Header=BB15_17 Depth=1
	s_or_b32 exec_lo, exec_lo, s1
	v_cmp_eq_u32_e32 vcc_lo, -1, v15
	buffer_gl1_inv
	buffer_gl0_inv
	v_cndmask_b32_e32 v15, v15, v23, vcc_lo
	v_ashrrev_i32_e32 v16, 31, v15
	v_lshlrev_b64 v[13:14], 3, v[15:16]
	v_add_co_u32 v13, vcc_lo, s20, v13
	v_add_co_ci_u32_e64 v14, null, s21, v14, vcc_lo
	global_load_dwordx2 v[13:14], v[13:14], off
	s_waitcnt vmcnt(0)
	v_cmp_neq_f64_e64 s1, 0, v[13:14]
	s_and_saveexec_b32 s7, s1
	s_cbranch_execz .LBB15_16
; %bb.20:                               ;   in Loop: Header=BB15_17 Depth=1
	v_mov_b32_e32 v16, 0
	v_add_nc_u32_e32 v18, v24, v6
	v_mov_b32_e32 v17, 0
	s_mov_b32 s10, exec_lo
	v_cmpx_lt_i32_e64 v18, v15
	s_cbranch_execz .LBB15_32
; %bb.21:                               ;   in Loop: Header=BB15_17 Depth=1
	v_mov_b32_e32 v16, 0
	v_mov_b32_e32 v17, 0
	s_mov_b32 s11, 0
	s_branch .LBB15_24
.LBB15_22:                              ;   in Loop: Header=BB15_24 Depth=2
	s_or_b32 exec_lo, exec_lo, s25
.LBB15_23:                              ;   in Loop: Header=BB15_24 Depth=2
	s_or_b32 exec_lo, exec_lo, s24
	v_add_nc_u32_e32 v18, 32, v18
	v_cmp_ge_i32_e32 vcc_lo, v18, v15
	s_or_b32 s11, vcc_lo, s11
	s_andn2_b32 exec_lo, exec_lo, s11
	s_cbranch_execz .LBB15_31
.LBB15_24:                              ;   Parent Loop BB15_17 Depth=1
                                        ; =>  This Loop Header: Depth=2
                                        ;       Child Loop BB15_27 Depth 3
	v_ashrrev_i32_e32 v19, 31, v18
	s_mov_b32 s24, exec_lo
	v_lshlrev_b64 v[30:31], 2, v[18:19]
	v_add_co_u32 v30, vcc_lo, s18, v30
	v_add_co_ci_u32_e64 v31, null, s19, v31, vcc_lo
	global_load_dword v6, v[30:31], off
	s_waitcnt vmcnt(0)
	v_mul_lo_u32 v30, v6, 39
	v_and_b32_e32 v32, 63, v30
	v_lshl_add_u32 v30, v32, 2, v21
	ds_read_b32 v31, v30
	s_waitcnt lgkmcnt(0)
	v_cmpx_ne_u32_e32 -1, v31
	s_cbranch_execz .LBB15_23
; %bb.25:                               ;   in Loop: Header=BB15_24 Depth=2
	s_mov_b32 s25, 0
                                        ; implicit-def: $sgpr26
                                        ; implicit-def: $sgpr28
                                        ; implicit-def: $sgpr27
	s_inst_prefetch 0x1
	s_branch .LBB15_27
	.p2align	6
.LBB15_26:                              ;   in Loop: Header=BB15_27 Depth=3
	s_or_b32 exec_lo, exec_lo, s29
	s_and_b32 s29, exec_lo, s28
	s_or_b32 s25, s29, s25
	s_andn2_b32 s26, s26, exec_lo
	s_and_b32 s29, s27, exec_lo
	s_or_b32 s26, s26, s29
	s_andn2_b32 exec_lo, exec_lo, s25
	s_cbranch_execz .LBB15_29
.LBB15_27:                              ;   Parent Loop BB15_17 Depth=1
                                        ;     Parent Loop BB15_24 Depth=2
                                        ; =>    This Inner Loop Header: Depth=3
	v_mov_b32_e32 v30, v32
	v_cmp_ne_u32_e32 vcc_lo, v31, v6
	s_or_b32 s27, s27, exec_lo
	s_or_b32 s28, s28, exec_lo
                                        ; implicit-def: $vgpr32
                                        ; implicit-def: $vgpr31
	s_and_saveexec_b32 s29, vcc_lo
	s_cbranch_execz .LBB15_26
; %bb.28:                               ;   in Loop: Header=BB15_27 Depth=3
	v_add_nc_u32_e32 v31, 1, v30
	s_andn2_b32 s28, s28, exec_lo
	s_andn2_b32 s27, s27, exec_lo
	v_and_b32_e32 v32, 63, v31
	v_lshl_add_u32 v31, v32, 2, v21
	ds_read_b32 v31, v31
	s_waitcnt lgkmcnt(0)
	v_cmp_eq_u32_e32 vcc_lo, -1, v31
	s_and_b32 s30, vcc_lo, exec_lo
	s_or_b32 s28, s28, s30
	s_branch .LBB15_26
.LBB15_29:                              ;   in Loop: Header=BB15_24 Depth=2
	s_inst_prefetch 0x2
	s_or_b32 exec_lo, exec_lo, s25
	s_and_saveexec_b32 s25, s26
	s_xor_b32 s25, exec_lo, s25
	s_cbranch_execz .LBB15_22
; %bb.30:                               ;   in Loop: Header=BB15_24 Depth=2
	v_lshl_add_u32 v6, v30, 2, v0
	v_lshlrev_b64 v[32:33], 3, v[18:19]
	ds_read_b32 v30, v6
	v_add_co_u32 v32, vcc_lo, s20, v32
	v_add_co_ci_u32_e64 v33, null, s21, v33, vcc_lo
	s_waitcnt lgkmcnt(0)
	v_ashrrev_i32_e32 v31, 31, v30
	v_lshlrev_b64 v[30:31], 3, v[30:31]
	v_add_co_u32 v30, vcc_lo, s20, v30
	v_add_co_ci_u32_e64 v31, null, s21, v31, vcc_lo
	s_clause 0x1
	global_load_dwordx2 v[32:33], v[32:33], off
	global_load_dwordx2 v[30:31], v[30:31], off
	s_waitcnt vmcnt(0)
	v_fma_f64 v[16:17], v[32:33], v[30:31], v[16:17]
	s_branch .LBB15_22
.LBB15_31:                              ;   in Loop: Header=BB15_17 Depth=1
	s_or_b32 exec_lo, exec_lo, s11
.LBB15_32:                              ;   in Loop: Header=BB15_17 Depth=1
	s_or_b32 exec_lo, exec_lo, s10
	v_cmp_gt_i32_e32 vcc_lo, 32, v25
	v_cndmask_b32_e32 v6, v22, v25, vcc_lo
	v_cmp_gt_i32_e32 vcc_lo, 32, v26
	v_lshlrev_b32_e32 v6, 2, v6
	ds_bpermute_b32 v18, v6, v16
	ds_bpermute_b32 v19, v6, v17
	v_cndmask_b32_e32 v6, v22, v26, vcc_lo
	v_cmp_gt_i32_e32 vcc_lo, 32, v27
	v_lshlrev_b32_e32 v6, 2, v6
	s_waitcnt lgkmcnt(0)
	v_add_f64 v[15:16], v[16:17], v[18:19]
	ds_bpermute_b32 v17, v6, v15
	ds_bpermute_b32 v18, v6, v16
	v_cndmask_b32_e32 v6, v22, v27, vcc_lo
	v_cmp_gt_i32_e32 vcc_lo, 32, v28
	v_lshlrev_b32_e32 v6, 2, v6
	s_waitcnt lgkmcnt(0)
	v_add_f64 v[15:16], v[15:16], v[17:18]
	;; [unrolled: 7-line block ×3, first 2 shown]
	ds_bpermute_b32 v17, v6, v15
	ds_bpermute_b32 v18, v6, v16
	v_cndmask_b32_e32 v6, v22, v29, vcc_lo
	v_lshlrev_b32_e32 v6, 2, v6
	s_waitcnt lgkmcnt(0)
	v_add_f64 v[15:16], v[15:16], v[17:18]
	ds_bpermute_b32 v17, v6, v15
	ds_bpermute_b32 v18, v6, v16
	s_and_saveexec_b32 s10, s0
	s_cbranch_execz .LBB15_15
; %bb.33:                               ;   in Loop: Header=BB15_17 Depth=1
	v_div_scale_f64 v[30:31], null, v[13:14], v[13:14], 1.0
	v_div_scale_f64 v[36:37], vcc_lo, 1.0, v[13:14], 1.0
	s_waitcnt lgkmcnt(0)
	v_add_f64 v[15:16], v[15:16], v[17:18]
	v_rcp_f64_e32 v[32:33], v[30:31]
	v_add_f64 v[11:12], v[11:12], -v[15:16]
	v_fma_f64 v[34:35], -v[30:31], v[32:33], 1.0
	v_fma_f64 v[32:33], v[32:33], v[34:35], v[32:33]
	v_fma_f64 v[34:35], -v[30:31], v[32:33], 1.0
	v_fma_f64 v[32:33], v[32:33], v[34:35], v[32:33]
	v_mul_f64 v[34:35], v[36:37], v[32:33]
	v_fma_f64 v[30:31], -v[30:31], v[34:35], v[36:37]
	v_div_fmas_f64 v[30:31], v[30:31], v[32:33], v[34:35]
	v_div_fixup_f64 v[13:14], v[30:31], v[13:14], 1.0
	v_mul_f64 v[11:12], v[13:14], v[11:12]
	v_fma_f64 v[7:8], v[11:12], v[11:12], v[7:8]
	global_store_dwordx2 v[9:10], v[11:12], off
	s_branch .LBB15_15
.LBB15_34:
	s_or_b32 exec_lo, exec_lo, s6
.LBB15_35:
	s_or_b32 exec_lo, exec_lo, s3
	v_cmp_eq_u32_e32 vcc_lo, 31, v20
	v_cmp_lt_i32_e64 s0, -1, v4
	s_and_b32 s0, vcc_lo, s0
	s_and_saveexec_b32 s3, s0
	s_cbranch_execz .LBB15_46
; %bb.36:
	v_mov_b32_e32 v5, 0
	v_add_nc_u32_e32 v0, s2, v3
	v_lshlrev_b64 v[4:5], 3, v[4:5]
	v_add_co_u32 v4, s0, s20, v4
	v_add_co_ci_u32_e64 v5, null, s21, v5, s0
	s_load_dwordx2 s[0:1], s[4:5], 0x48
	global_load_dwordx2 v[9:10], v[4:5], off
	s_waitcnt lgkmcnt(0)
	v_mul_f64 v[11:12], s[0:1], s[0:1]
	s_mov_b32 s1, exec_lo
	s_waitcnt vmcnt(0)
	v_add_f64 v[6:7], v[9:10], -v[7:8]
	v_cmpx_le_f64_e32 v[6:7], v[11:12]
	s_cbranch_execz .LBB15_41
; %bb.37:
	s_mov_b32 s0, exec_lo
	s_brev_b32 s2, -2
.LBB15_38:                              ; =>This Inner Loop Header: Depth=1
	s_ff1_i32_b32 s4, s0
	v_readlane_b32 s5, v0, s4
	s_lshl_b32 s4, 1, s4
	s_andn2_b32 s0, s0, s4
	s_min_i32 s2, s2, s5
	s_cmp_lg_u32 s0, 0
	s_cbranch_scc1 .LBB15_38
; %bb.39:
	v_mbcnt_lo_u32_b32 v3, exec_lo, 0
	s_mov_b32 s4, exec_lo
	v_cmpx_eq_u32_e32 0, v3
	s_xor_b32 s4, exec_lo, s4
	s_cbranch_execz .LBB15_41
; %bb.40:
	v_mov_b32_e32 v3, 0
	v_mov_b32_e32 v8, s2
	global_atomic_smin v3, v8, s[14:15]
.LBB15_41:
	s_or_b32 exec_lo, exec_lo, s1
	v_cmp_gt_f64_e64 s0, 0, v[6:7]
	v_xor_b32_e32 v3, 0x80000000, v7
	v_mov_b32_e32 v8, v6
	v_cmp_eq_f64_e64 s1, 0, v[6:7]
	v_cndmask_b32_e64 v9, v7, v3, s0
	v_cmp_gt_f64_e64 s0, 0x10000000, v[8:9]
	v_cndmask_b32_e64 v3, 0, 0x100, s0
	v_ldexp_f64 v[8:9], v[8:9], v3
	v_cndmask_b32_e64 v3, 0, 0xffffff80, s0
	v_rsq_f64_e32 v[10:11], v[8:9]
	v_cmp_class_f64_e64 s0, v[8:9], 0x260
	v_mul_f64 v[12:13], v[8:9], v[10:11]
	v_mul_f64 v[10:11], v[10:11], 0.5
	v_fma_f64 v[14:15], -v[10:11], v[12:13], 0.5
	v_fma_f64 v[12:13], v[12:13], v[14:15], v[12:13]
	v_fma_f64 v[10:11], v[10:11], v[14:15], v[10:11]
	v_fma_f64 v[14:15], -v[12:13], v[12:13], v[8:9]
	v_fma_f64 v[12:13], v[14:15], v[10:11], v[12:13]
	v_fma_f64 v[14:15], -v[12:13], v[12:13], v[8:9]
	v_fma_f64 v[10:11], v[14:15], v[10:11], v[12:13]
	v_ldexp_f64 v[10:11], v[10:11], v3
	v_cndmask_b32_e64 v7, v11, v9, s0
	v_cndmask_b32_e64 v6, v10, v8, s0
	global_store_dwordx2 v[4:5], v[6:7], off
	s_and_b32 exec_lo, exec_lo, s1
	s_cbranch_execz .LBB15_46
; %bb.42:
	s_mov_b32 s0, exec_lo
	s_brev_b32 s1, -2
.LBB15_43:                              ; =>This Inner Loop Header: Depth=1
	s_ff1_i32_b32 s2, s0
	v_readlane_b32 s4, v0, s2
	s_lshl_b32 s2, 1, s2
	s_andn2_b32 s0, s0, s2
	s_min_i32 s1, s1, s4
	s_cmp_lg_u32 s0, 0
	s_cbranch_scc1 .LBB15_43
; %bb.44:
	v_mbcnt_lo_u32_b32 v0, exec_lo, 0
	s_mov_b32 s2, exec_lo
	v_cmpx_eq_u32_e32 0, v0
	s_xor_b32 s2, exec_lo, s2
	s_cbranch_execz .LBB15_46
; %bb.45:
	v_mov_b32_e32 v0, 0
	v_mov_b32_e32 v3, s1
	global_atomic_smin v0, v3, s[12:13]
.LBB15_46:
	s_or_b32 exec_lo, exec_lo, s3
	s_and_b32 exec_lo, exec_lo, vcc_lo
	s_cbranch_execz .LBB15_48
; %bb.47:
	v_add_co_u32 v0, vcc_lo, s8, v1
	v_add_co_ci_u32_e64 v1, null, s9, v2, vcc_lo
	v_mov_b32_e32 v2, 1
	s_waitcnt lgkmcnt(0)
	s_waitcnt_vscnt null, 0x0
	global_store_dword v[0:1], v2, off
.LBB15_48:
	s_endpgm
	.section	.rodata,"a",@progbits
	.p2align	6, 0x0
	.amdhsa_kernel _ZN9rocsparseL18csric0_hash_kernelILj256ELj32ELj2EdEEviPKiS2_PT2_S2_PiS2_S5_S5_d21rocsparse_index_base_
		.amdhsa_group_segment_fixed_size 4096
		.amdhsa_private_segment_fixed_size 0
		.amdhsa_kernarg_size 84
		.amdhsa_user_sgpr_count 6
		.amdhsa_user_sgpr_private_segment_buffer 1
		.amdhsa_user_sgpr_dispatch_ptr 0
		.amdhsa_user_sgpr_queue_ptr 0
		.amdhsa_user_sgpr_kernarg_segment_ptr 1
		.amdhsa_user_sgpr_dispatch_id 0
		.amdhsa_user_sgpr_flat_scratch_init 0
		.amdhsa_user_sgpr_private_segment_size 0
		.amdhsa_wavefront_size32 1
		.amdhsa_uses_dynamic_stack 0
		.amdhsa_system_sgpr_private_segment_wavefront_offset 0
		.amdhsa_system_sgpr_workgroup_id_x 1
		.amdhsa_system_sgpr_workgroup_id_y 0
		.amdhsa_system_sgpr_workgroup_id_z 0
		.amdhsa_system_sgpr_workgroup_info 0
		.amdhsa_system_vgpr_workitem_id 0
		.amdhsa_next_free_vgpr 38
		.amdhsa_next_free_sgpr 31
		.amdhsa_reserve_vcc 1
		.amdhsa_reserve_flat_scratch 0
		.amdhsa_float_round_mode_32 0
		.amdhsa_float_round_mode_16_64 0
		.amdhsa_float_denorm_mode_32 3
		.amdhsa_float_denorm_mode_16_64 3
		.amdhsa_dx10_clamp 1
		.amdhsa_ieee_mode 1
		.amdhsa_fp16_overflow 0
		.amdhsa_workgroup_processor_mode 1
		.amdhsa_memory_ordered 1
		.amdhsa_forward_progress 1
		.amdhsa_shared_vgpr_count 0
		.amdhsa_exception_fp_ieee_invalid_op 0
		.amdhsa_exception_fp_denorm_src 0
		.amdhsa_exception_fp_ieee_div_zero 0
		.amdhsa_exception_fp_ieee_overflow 0
		.amdhsa_exception_fp_ieee_underflow 0
		.amdhsa_exception_fp_ieee_inexact 0
		.amdhsa_exception_int_div_zero 0
	.end_amdhsa_kernel
	.section	.text._ZN9rocsparseL18csric0_hash_kernelILj256ELj32ELj2EdEEviPKiS2_PT2_S2_PiS2_S5_S5_d21rocsparse_index_base_,"axG",@progbits,_ZN9rocsparseL18csric0_hash_kernelILj256ELj32ELj2EdEEviPKiS2_PT2_S2_PiS2_S5_S5_d21rocsparse_index_base_,comdat
.Lfunc_end15:
	.size	_ZN9rocsparseL18csric0_hash_kernelILj256ELj32ELj2EdEEviPKiS2_PT2_S2_PiS2_S5_S5_d21rocsparse_index_base_, .Lfunc_end15-_ZN9rocsparseL18csric0_hash_kernelILj256ELj32ELj2EdEEviPKiS2_PT2_S2_PiS2_S5_S5_d21rocsparse_index_base_
                                        ; -- End function
	.set _ZN9rocsparseL18csric0_hash_kernelILj256ELj32ELj2EdEEviPKiS2_PT2_S2_PiS2_S5_S5_d21rocsparse_index_base_.num_vgpr, 38
	.set _ZN9rocsparseL18csric0_hash_kernelILj256ELj32ELj2EdEEviPKiS2_PT2_S2_PiS2_S5_S5_d21rocsparse_index_base_.num_agpr, 0
	.set _ZN9rocsparseL18csric0_hash_kernelILj256ELj32ELj2EdEEviPKiS2_PT2_S2_PiS2_S5_S5_d21rocsparse_index_base_.numbered_sgpr, 31
	.set _ZN9rocsparseL18csric0_hash_kernelILj256ELj32ELj2EdEEviPKiS2_PT2_S2_PiS2_S5_S5_d21rocsparse_index_base_.num_named_barrier, 0
	.set _ZN9rocsparseL18csric0_hash_kernelILj256ELj32ELj2EdEEviPKiS2_PT2_S2_PiS2_S5_S5_d21rocsparse_index_base_.private_seg_size, 0
	.set _ZN9rocsparseL18csric0_hash_kernelILj256ELj32ELj2EdEEviPKiS2_PT2_S2_PiS2_S5_S5_d21rocsparse_index_base_.uses_vcc, 1
	.set _ZN9rocsparseL18csric0_hash_kernelILj256ELj32ELj2EdEEviPKiS2_PT2_S2_PiS2_S5_S5_d21rocsparse_index_base_.uses_flat_scratch, 0
	.set _ZN9rocsparseL18csric0_hash_kernelILj256ELj32ELj2EdEEviPKiS2_PT2_S2_PiS2_S5_S5_d21rocsparse_index_base_.has_dyn_sized_stack, 0
	.set _ZN9rocsparseL18csric0_hash_kernelILj256ELj32ELj2EdEEviPKiS2_PT2_S2_PiS2_S5_S5_d21rocsparse_index_base_.has_recursion, 0
	.set _ZN9rocsparseL18csric0_hash_kernelILj256ELj32ELj2EdEEviPKiS2_PT2_S2_PiS2_S5_S5_d21rocsparse_index_base_.has_indirect_call, 0
	.section	.AMDGPU.csdata,"",@progbits
; Kernel info:
; codeLenInByte = 2328
; TotalNumSgprs: 33
; NumVgprs: 38
; ScratchSize: 0
; MemoryBound: 0
; FloatMode: 240
; IeeeMode: 1
; LDSByteSize: 4096 bytes/workgroup (compile time only)
; SGPRBlocks: 0
; VGPRBlocks: 4
; NumSGPRsForWavesPerEU: 33
; NumVGPRsForWavesPerEU: 38
; Occupancy: 16
; WaveLimiterHint : 1
; COMPUTE_PGM_RSRC2:SCRATCH_EN: 0
; COMPUTE_PGM_RSRC2:USER_SGPR: 6
; COMPUTE_PGM_RSRC2:TRAP_HANDLER: 0
; COMPUTE_PGM_RSRC2:TGID_X_EN: 1
; COMPUTE_PGM_RSRC2:TGID_Y_EN: 0
; COMPUTE_PGM_RSRC2:TGID_Z_EN: 0
; COMPUTE_PGM_RSRC2:TIDIG_COMP_CNT: 0
	.section	.text._ZN9rocsparseL18csric0_hash_kernelILj256ELj32ELj4EdEEviPKiS2_PT2_S2_PiS2_S5_S5_d21rocsparse_index_base_,"axG",@progbits,_ZN9rocsparseL18csric0_hash_kernelILj256ELj32ELj4EdEEviPKiS2_PT2_S2_PiS2_S5_S5_d21rocsparse_index_base_,comdat
	.globl	_ZN9rocsparseL18csric0_hash_kernelILj256ELj32ELj4EdEEviPKiS2_PT2_S2_PiS2_S5_S5_d21rocsparse_index_base_ ; -- Begin function _ZN9rocsparseL18csric0_hash_kernelILj256ELj32ELj4EdEEviPKiS2_PT2_S2_PiS2_S5_S5_d21rocsparse_index_base_
	.p2align	8
	.type	_ZN9rocsparseL18csric0_hash_kernelILj256ELj32ELj4EdEEviPKiS2_PT2_S2_PiS2_S5_S5_d21rocsparse_index_base_,@function
_ZN9rocsparseL18csric0_hash_kernelILj256ELj32ELj4EdEEviPKiS2_PT2_S2_PiS2_S5_S5_d21rocsparse_index_base_: ; @_ZN9rocsparseL18csric0_hash_kernelILj256ELj32ELj4EdEEviPKiS2_PT2_S2_PiS2_S5_S5_d21rocsparse_index_base_
; %bb.0:
	s_clause 0x1
	s_load_dwordx8 s[16:23], s[4:5], 0x8
	s_load_dwordx8 s[8:15], s[4:5], 0x28
	v_lshrrev_b32_e32 v1, 5, v0
	v_and_b32_e32 v20, 31, v0
	s_mov_b32 s0, 0
	v_lshlrev_b32_e32 v3, 9, v1
	v_lshlrev_b32_e32 v4, 2, v20
	v_or_b32_e32 v2, 0xffffffe0, v20
	v_or3_b32 v3, v3, v4, 0x1000
	v_mov_b32_e32 v4, -1
.LBB16_1:                               ; =>This Inner Loop Header: Depth=1
	v_add_nc_u32_e32 v2, 32, v2
	ds_write_b32 v3, v4
	v_add_nc_u32_e32 v3, 0x80, v3
	v_cmp_lt_u32_e32 vcc_lo, 0x5f, v2
	s_or_b32 s0, vcc_lo, s0
	s_andn2_b32 exec_lo, exec_lo, s0
	s_cbranch_execnz .LBB16_1
; %bb.2:
	s_or_b32 exec_lo, exec_lo, s0
	s_load_dword s0, s[4:5], 0x0
	s_lshl_b32 s1, s6, 3
	s_waitcnt lgkmcnt(0)
	buffer_gl0_inv
	v_and_or_b32 v1, 0x7fffff8, s1, v1
	v_cmp_gt_i32_e32 vcc_lo, s0, v1
	s_and_saveexec_b32 s0, vcc_lo
	s_cbranch_execz .LBB16_48
; %bb.3:
	v_lshlrev_b32_e32 v1, 2, v1
	s_load_dword s2, s[4:5], 0x50
	v_lshlrev_b32_e32 v0, 4, v0
	s_mov_b32 s0, exec_lo
	global_load_dword v3, v1, s[10:11]
	v_and_b32_e32 v0, 0xe00, v0
	v_or_b32_e32 v21, 0x1000, v0
	s_waitcnt vmcnt(0)
	v_ashrrev_i32_e32 v4, 31, v3
	v_lshlrev_b64 v[1:2], 2, v[3:4]
	v_add_co_u32 v4, vcc_lo, s16, v1
	v_add_co_ci_u32_e64 v5, null, s17, v2, vcc_lo
	v_add_co_u32 v7, vcc_lo, s22, v1
	v_add_co_ci_u32_e64 v8, null, s23, v2, vcc_lo
	global_load_dwordx2 v[5:6], v[4:5], off
	global_load_dword v4, v[7:8], off
	s_waitcnt vmcnt(1) lgkmcnt(0)
	v_subrev_nc_u32_e32 v5, s2, v5
	v_subrev_nc_u32_e32 v8, s2, v6
	v_add_nc_u32_e32 v6, v5, v20
	v_cmpx_lt_i32_e64 v6, v8
	s_cbranch_execz .LBB16_13
; %bb.4:
	v_mov_b32_e32 v9, -1
	s_mov_b32 s1, 0
	s_branch .LBB16_6
.LBB16_5:                               ;   in Loop: Header=BB16_6 Depth=1
	s_or_b32 exec_lo, exec_lo, s3
	v_add_nc_u32_e32 v6, 32, v6
	v_cmp_ge_i32_e32 vcc_lo, v6, v8
	s_or_b32 s1, vcc_lo, s1
	s_andn2_b32 exec_lo, exec_lo, s1
	s_cbranch_execz .LBB16_13
.LBB16_6:                               ; =>This Loop Header: Depth=1
                                        ;     Child Loop BB16_9 Depth 2
	v_ashrrev_i32_e32 v7, 31, v6
	s_mov_b32 s3, exec_lo
	v_lshlrev_b64 v[10:11], 2, v[6:7]
	v_add_co_u32 v10, vcc_lo, s18, v10
	v_add_co_ci_u32_e64 v11, null, s19, v11, vcc_lo
	global_load_dword v7, v[10:11], off
	s_waitcnt vmcnt(0)
	v_mul_lo_u32 v10, 0x67, v7
	v_and_b32_e32 v10, 0x7f, v10
	v_lshl_add_u32 v11, v10, 2, v21
	ds_read_b32 v12, v11
	s_waitcnt lgkmcnt(0)
	v_cmpx_ne_u32_e64 v12, v7
	s_cbranch_execz .LBB16_5
; %bb.7:                                ;   in Loop: Header=BB16_6 Depth=1
	s_mov_b32 s6, 0
                                        ; implicit-def: $sgpr7
                                        ; implicit-def: $sgpr11
                                        ; implicit-def: $sgpr10
	s_inst_prefetch 0x1
	s_branch .LBB16_9
	.p2align	6
.LBB16_8:                               ;   in Loop: Header=BB16_9 Depth=2
	s_or_b32 exec_lo, exec_lo, s24
	s_and_b32 s24, exec_lo, s11
	s_or_b32 s6, s24, s6
	s_andn2_b32 s7, s7, exec_lo
	s_and_b32 s24, s10, exec_lo
	s_or_b32 s7, s7, s24
	s_andn2_b32 exec_lo, exec_lo, s6
	s_cbranch_execz .LBB16_11
.LBB16_9:                               ;   Parent Loop BB16_6 Depth=1
                                        ; =>  This Inner Loop Header: Depth=2
	ds_cmpst_rtn_b32 v11, v11, v9, v7
	v_mov_b32_e32 v12, v10
	s_or_b32 s10, s10, exec_lo
	s_or_b32 s11, s11, exec_lo
                                        ; implicit-def: $vgpr10
	s_waitcnt lgkmcnt(0)
	v_cmp_ne_u32_e32 vcc_lo, -1, v11
                                        ; implicit-def: $vgpr11
	s_and_saveexec_b32 s24, vcc_lo
	s_cbranch_execz .LBB16_8
; %bb.10:                               ;   in Loop: Header=BB16_9 Depth=2
	v_add_nc_u32_e32 v10, 1, v12
	s_andn2_b32 s11, s11, exec_lo
	s_andn2_b32 s10, s10, exec_lo
	v_and_b32_e32 v10, 0x7f, v10
	v_lshl_add_u32 v11, v10, 2, v21
	ds_read_b32 v13, v11
	s_waitcnt lgkmcnt(0)
	v_cmp_eq_u32_e32 vcc_lo, v13, v7
	s_and_b32 s25, vcc_lo, exec_lo
	s_or_b32 s11, s11, s25
	s_branch .LBB16_8
.LBB16_11:                              ;   in Loop: Header=BB16_6 Depth=1
	s_inst_prefetch 0x2
	s_or_b32 exec_lo, exec_lo, s6
	s_and_saveexec_b32 s6, s7
	s_xor_b32 s6, exec_lo, s6
	s_cbranch_execz .LBB16_5
; %bb.12:                               ;   in Loop: Header=BB16_6 Depth=1
	v_lshl_add_u32 v7, v12, 2, v0
	ds_write_b32 v7, v6
	s_branch .LBB16_5
.LBB16_13:
	s_or_b32 exec_lo, exec_lo, s0
	v_mov_b32_e32 v7, 0
	v_mov_b32_e32 v8, 0
	s_mov_b32 s3, exec_lo
	s_waitcnt vmcnt(0) lgkmcnt(0)
	buffer_gl0_inv
	v_cmpx_lt_i32_e64 v5, v4
	s_cbranch_execz .LBB16_35
; %bb.14:
	v_mbcnt_lo_u32_b32 v22, -1, 0
	v_mov_b32_e32 v7, 0
	v_add_nc_u32_e32 v23, -1, v4
	v_subrev_nc_u32_e32 v24, s2, v20
	v_cmp_eq_u32_e64 s0, 31, v20
	v_mov_b32_e32 v8, 0
	v_xor_b32_e32 v25, 16, v22
	v_xor_b32_e32 v26, 8, v22
	;; [unrolled: 1-line block ×5, first 2 shown]
	s_mov_b32 s6, 0
	s_branch .LBB16_17
.LBB16_15:                              ;   in Loop: Header=BB16_17 Depth=1
	s_or_b32 exec_lo, exec_lo, s10
.LBB16_16:                              ;   in Loop: Header=BB16_17 Depth=1
	s_or_b32 exec_lo, exec_lo, s7
	v_add_nc_u32_e32 v5, 1, v5
	s_xor_b32 s1, s1, -1
	v_cmp_ge_i32_e32 vcc_lo, v5, v4
	s_or_b32 s1, s1, vcc_lo
	s_and_b32 s1, exec_lo, s1
	s_or_b32 s6, s1, s6
	s_andn2_b32 exec_lo, exec_lo, s6
	s_cbranch_execz .LBB16_34
.LBB16_17:                              ; =>This Loop Header: Depth=1
                                        ;     Child Loop BB16_18 Depth 2
                                        ;     Child Loop BB16_24 Depth 2
                                        ;       Child Loop BB16_27 Depth 3
	v_ashrrev_i32_e32 v6, 31, v5
	s_mov_b32 s1, 0
	v_lshlrev_b64 v[9:10], 2, v[5:6]
	v_lshlrev_b64 v[11:12], 3, v[5:6]
	v_add_co_u32 v9, vcc_lo, s18, v9
	v_add_co_ci_u32_e64 v10, null, s19, v10, vcc_lo
	global_load_dword v9, v[9:10], off
	s_waitcnt vmcnt(0)
	v_subrev_nc_u32_e32 v9, s2, v9
	v_ashrrev_i32_e32 v10, 31, v9
	v_lshlrev_b64 v[13:14], 2, v[9:10]
	v_add_co_u32 v9, vcc_lo, s20, v11
	v_add_co_ci_u32_e64 v10, null, s21, v12, vcc_lo
	v_add_co_u32 v15, vcc_lo, s16, v13
	v_add_co_ci_u32_e64 v16, null, s17, v14, vcc_lo
	s_waitcnt lgkmcnt(1)
	v_add_co_u32 v17, vcc_lo, s22, v13
	s_waitcnt lgkmcnt(0)
	v_add_co_ci_u32_e64 v18, null, s23, v14, vcc_lo
	global_load_dwordx2 v[11:12], v[9:10], off
	global_load_dword v6, v[15:16], off
	global_load_dword v15, v[17:18], off
	v_add_co_u32 v13, vcc_lo, s8, v13
	v_add_co_ci_u32_e64 v14, null, s9, v14, vcc_lo
.LBB16_18:                              ;   Parent Loop BB16_17 Depth=1
                                        ; =>  This Inner Loop Header: Depth=2
	global_load_dword v16, v[13:14], off glc dlc
	s_waitcnt vmcnt(0)
	v_cmp_ne_u32_e32 vcc_lo, 0, v16
	s_or_b32 s1, vcc_lo, s1
	s_andn2_b32 exec_lo, exec_lo, s1
	s_cbranch_execnz .LBB16_18
; %bb.19:                               ;   in Loop: Header=BB16_17 Depth=1
	s_or_b32 exec_lo, exec_lo, s1
	v_cmp_eq_u32_e32 vcc_lo, -1, v15
	buffer_gl1_inv
	buffer_gl0_inv
	v_cndmask_b32_e32 v15, v15, v23, vcc_lo
	v_ashrrev_i32_e32 v16, 31, v15
	v_lshlrev_b64 v[13:14], 3, v[15:16]
	v_add_co_u32 v13, vcc_lo, s20, v13
	v_add_co_ci_u32_e64 v14, null, s21, v14, vcc_lo
	global_load_dwordx2 v[13:14], v[13:14], off
	s_waitcnt vmcnt(0)
	v_cmp_neq_f64_e64 s1, 0, v[13:14]
	s_and_saveexec_b32 s7, s1
	s_cbranch_execz .LBB16_16
; %bb.20:                               ;   in Loop: Header=BB16_17 Depth=1
	v_mov_b32_e32 v16, 0
	v_add_nc_u32_e32 v18, v24, v6
	v_mov_b32_e32 v17, 0
	s_mov_b32 s10, exec_lo
	v_cmpx_lt_i32_e64 v18, v15
	s_cbranch_execz .LBB16_32
; %bb.21:                               ;   in Loop: Header=BB16_17 Depth=1
	v_mov_b32_e32 v16, 0
	v_mov_b32_e32 v17, 0
	s_mov_b32 s11, 0
	s_branch .LBB16_24
.LBB16_22:                              ;   in Loop: Header=BB16_24 Depth=2
	s_or_b32 exec_lo, exec_lo, s25
.LBB16_23:                              ;   in Loop: Header=BB16_24 Depth=2
	s_or_b32 exec_lo, exec_lo, s24
	v_add_nc_u32_e32 v18, 32, v18
	v_cmp_ge_i32_e32 vcc_lo, v18, v15
	s_or_b32 s11, vcc_lo, s11
	s_andn2_b32 exec_lo, exec_lo, s11
	s_cbranch_execz .LBB16_31
.LBB16_24:                              ;   Parent Loop BB16_17 Depth=1
                                        ; =>  This Loop Header: Depth=2
                                        ;       Child Loop BB16_27 Depth 3
	v_ashrrev_i32_e32 v19, 31, v18
	s_mov_b32 s24, exec_lo
	v_lshlrev_b64 v[30:31], 2, v[18:19]
	v_add_co_u32 v30, vcc_lo, s18, v30
	v_add_co_ci_u32_e64 v31, null, s19, v31, vcc_lo
	global_load_dword v6, v[30:31], off
	s_waitcnt vmcnt(0)
	v_mul_lo_u32 v30, 0x67, v6
	v_and_b32_e32 v32, 0x7f, v30
	v_lshl_add_u32 v30, v32, 2, v21
	ds_read_b32 v31, v30
	s_waitcnt lgkmcnt(0)
	v_cmpx_ne_u32_e32 -1, v31
	s_cbranch_execz .LBB16_23
; %bb.25:                               ;   in Loop: Header=BB16_24 Depth=2
	s_mov_b32 s25, 0
                                        ; implicit-def: $sgpr26
                                        ; implicit-def: $sgpr28
                                        ; implicit-def: $sgpr27
	s_inst_prefetch 0x1
	s_branch .LBB16_27
	.p2align	6
.LBB16_26:                              ;   in Loop: Header=BB16_27 Depth=3
	s_or_b32 exec_lo, exec_lo, s29
	s_and_b32 s29, exec_lo, s28
	s_or_b32 s25, s29, s25
	s_andn2_b32 s26, s26, exec_lo
	s_and_b32 s29, s27, exec_lo
	s_or_b32 s26, s26, s29
	s_andn2_b32 exec_lo, exec_lo, s25
	s_cbranch_execz .LBB16_29
.LBB16_27:                              ;   Parent Loop BB16_17 Depth=1
                                        ;     Parent Loop BB16_24 Depth=2
                                        ; =>    This Inner Loop Header: Depth=3
	v_mov_b32_e32 v30, v32
	v_cmp_ne_u32_e32 vcc_lo, v31, v6
	s_or_b32 s27, s27, exec_lo
	s_or_b32 s28, s28, exec_lo
                                        ; implicit-def: $vgpr32
                                        ; implicit-def: $vgpr31
	s_and_saveexec_b32 s29, vcc_lo
	s_cbranch_execz .LBB16_26
; %bb.28:                               ;   in Loop: Header=BB16_27 Depth=3
	v_add_nc_u32_e32 v31, 1, v30
	s_andn2_b32 s28, s28, exec_lo
	s_andn2_b32 s27, s27, exec_lo
	v_and_b32_e32 v32, 0x7f, v31
	v_lshl_add_u32 v31, v32, 2, v21
	ds_read_b32 v31, v31
	s_waitcnt lgkmcnt(0)
	v_cmp_eq_u32_e32 vcc_lo, -1, v31
	s_and_b32 s30, vcc_lo, exec_lo
	s_or_b32 s28, s28, s30
	s_branch .LBB16_26
.LBB16_29:                              ;   in Loop: Header=BB16_24 Depth=2
	s_inst_prefetch 0x2
	s_or_b32 exec_lo, exec_lo, s25
	s_and_saveexec_b32 s25, s26
	s_xor_b32 s25, exec_lo, s25
	s_cbranch_execz .LBB16_22
; %bb.30:                               ;   in Loop: Header=BB16_24 Depth=2
	v_lshl_add_u32 v6, v30, 2, v0
	v_lshlrev_b64 v[32:33], 3, v[18:19]
	ds_read_b32 v30, v6
	v_add_co_u32 v32, vcc_lo, s20, v32
	v_add_co_ci_u32_e64 v33, null, s21, v33, vcc_lo
	s_waitcnt lgkmcnt(0)
	v_ashrrev_i32_e32 v31, 31, v30
	v_lshlrev_b64 v[30:31], 3, v[30:31]
	v_add_co_u32 v30, vcc_lo, s20, v30
	v_add_co_ci_u32_e64 v31, null, s21, v31, vcc_lo
	s_clause 0x1
	global_load_dwordx2 v[32:33], v[32:33], off
	global_load_dwordx2 v[30:31], v[30:31], off
	s_waitcnt vmcnt(0)
	v_fma_f64 v[16:17], v[32:33], v[30:31], v[16:17]
	s_branch .LBB16_22
.LBB16_31:                              ;   in Loop: Header=BB16_17 Depth=1
	s_or_b32 exec_lo, exec_lo, s11
.LBB16_32:                              ;   in Loop: Header=BB16_17 Depth=1
	s_or_b32 exec_lo, exec_lo, s10
	v_cmp_gt_i32_e32 vcc_lo, 32, v25
	v_cndmask_b32_e32 v6, v22, v25, vcc_lo
	v_cmp_gt_i32_e32 vcc_lo, 32, v26
	v_lshlrev_b32_e32 v6, 2, v6
	ds_bpermute_b32 v18, v6, v16
	ds_bpermute_b32 v19, v6, v17
	v_cndmask_b32_e32 v6, v22, v26, vcc_lo
	v_cmp_gt_i32_e32 vcc_lo, 32, v27
	v_lshlrev_b32_e32 v6, 2, v6
	s_waitcnt lgkmcnt(0)
	v_add_f64 v[15:16], v[16:17], v[18:19]
	ds_bpermute_b32 v17, v6, v15
	ds_bpermute_b32 v18, v6, v16
	v_cndmask_b32_e32 v6, v22, v27, vcc_lo
	v_cmp_gt_i32_e32 vcc_lo, 32, v28
	v_lshlrev_b32_e32 v6, 2, v6
	s_waitcnt lgkmcnt(0)
	v_add_f64 v[15:16], v[15:16], v[17:18]
	;; [unrolled: 7-line block ×3, first 2 shown]
	ds_bpermute_b32 v17, v6, v15
	ds_bpermute_b32 v18, v6, v16
	v_cndmask_b32_e32 v6, v22, v29, vcc_lo
	v_lshlrev_b32_e32 v6, 2, v6
	s_waitcnt lgkmcnt(0)
	v_add_f64 v[15:16], v[15:16], v[17:18]
	ds_bpermute_b32 v17, v6, v15
	ds_bpermute_b32 v18, v6, v16
	s_and_saveexec_b32 s10, s0
	s_cbranch_execz .LBB16_15
; %bb.33:                               ;   in Loop: Header=BB16_17 Depth=1
	v_div_scale_f64 v[30:31], null, v[13:14], v[13:14], 1.0
	v_div_scale_f64 v[36:37], vcc_lo, 1.0, v[13:14], 1.0
	s_waitcnt lgkmcnt(0)
	v_add_f64 v[15:16], v[15:16], v[17:18]
	v_rcp_f64_e32 v[32:33], v[30:31]
	v_add_f64 v[11:12], v[11:12], -v[15:16]
	v_fma_f64 v[34:35], -v[30:31], v[32:33], 1.0
	v_fma_f64 v[32:33], v[32:33], v[34:35], v[32:33]
	v_fma_f64 v[34:35], -v[30:31], v[32:33], 1.0
	v_fma_f64 v[32:33], v[32:33], v[34:35], v[32:33]
	v_mul_f64 v[34:35], v[36:37], v[32:33]
	v_fma_f64 v[30:31], -v[30:31], v[34:35], v[36:37]
	v_div_fmas_f64 v[30:31], v[30:31], v[32:33], v[34:35]
	v_div_fixup_f64 v[13:14], v[30:31], v[13:14], 1.0
	v_mul_f64 v[11:12], v[13:14], v[11:12]
	v_fma_f64 v[7:8], v[11:12], v[11:12], v[7:8]
	global_store_dwordx2 v[9:10], v[11:12], off
	s_branch .LBB16_15
.LBB16_34:
	s_or_b32 exec_lo, exec_lo, s6
.LBB16_35:
	s_or_b32 exec_lo, exec_lo, s3
	v_cmp_eq_u32_e32 vcc_lo, 31, v20
	v_cmp_lt_i32_e64 s0, -1, v4
	s_and_b32 s0, vcc_lo, s0
	s_and_saveexec_b32 s3, s0
	s_cbranch_execz .LBB16_46
; %bb.36:
	v_mov_b32_e32 v5, 0
	v_add_nc_u32_e32 v0, s2, v3
	v_lshlrev_b64 v[4:5], 3, v[4:5]
	v_add_co_u32 v4, s0, s20, v4
	v_add_co_ci_u32_e64 v5, null, s21, v5, s0
	s_load_dwordx2 s[0:1], s[4:5], 0x48
	global_load_dwordx2 v[9:10], v[4:5], off
	s_waitcnt lgkmcnt(0)
	v_mul_f64 v[11:12], s[0:1], s[0:1]
	s_mov_b32 s1, exec_lo
	s_waitcnt vmcnt(0)
	v_add_f64 v[6:7], v[9:10], -v[7:8]
	v_cmpx_le_f64_e32 v[6:7], v[11:12]
	s_cbranch_execz .LBB16_41
; %bb.37:
	s_mov_b32 s0, exec_lo
	s_brev_b32 s2, -2
.LBB16_38:                              ; =>This Inner Loop Header: Depth=1
	s_ff1_i32_b32 s4, s0
	v_readlane_b32 s5, v0, s4
	s_lshl_b32 s4, 1, s4
	s_andn2_b32 s0, s0, s4
	s_min_i32 s2, s2, s5
	s_cmp_lg_u32 s0, 0
	s_cbranch_scc1 .LBB16_38
; %bb.39:
	v_mbcnt_lo_u32_b32 v3, exec_lo, 0
	s_mov_b32 s4, exec_lo
	v_cmpx_eq_u32_e32 0, v3
	s_xor_b32 s4, exec_lo, s4
	s_cbranch_execz .LBB16_41
; %bb.40:
	v_mov_b32_e32 v3, 0
	v_mov_b32_e32 v8, s2
	global_atomic_smin v3, v8, s[14:15]
.LBB16_41:
	s_or_b32 exec_lo, exec_lo, s1
	v_cmp_gt_f64_e64 s0, 0, v[6:7]
	v_xor_b32_e32 v3, 0x80000000, v7
	v_mov_b32_e32 v8, v6
	v_cmp_eq_f64_e64 s1, 0, v[6:7]
	v_cndmask_b32_e64 v9, v7, v3, s0
	v_cmp_gt_f64_e64 s0, 0x10000000, v[8:9]
	v_cndmask_b32_e64 v3, 0, 0x100, s0
	v_ldexp_f64 v[8:9], v[8:9], v3
	v_cndmask_b32_e64 v3, 0, 0xffffff80, s0
	v_rsq_f64_e32 v[10:11], v[8:9]
	v_cmp_class_f64_e64 s0, v[8:9], 0x260
	v_mul_f64 v[12:13], v[8:9], v[10:11]
	v_mul_f64 v[10:11], v[10:11], 0.5
	v_fma_f64 v[14:15], -v[10:11], v[12:13], 0.5
	v_fma_f64 v[12:13], v[12:13], v[14:15], v[12:13]
	v_fma_f64 v[10:11], v[10:11], v[14:15], v[10:11]
	v_fma_f64 v[14:15], -v[12:13], v[12:13], v[8:9]
	v_fma_f64 v[12:13], v[14:15], v[10:11], v[12:13]
	v_fma_f64 v[14:15], -v[12:13], v[12:13], v[8:9]
	v_fma_f64 v[10:11], v[14:15], v[10:11], v[12:13]
	v_ldexp_f64 v[10:11], v[10:11], v3
	v_cndmask_b32_e64 v7, v11, v9, s0
	v_cndmask_b32_e64 v6, v10, v8, s0
	global_store_dwordx2 v[4:5], v[6:7], off
	s_and_b32 exec_lo, exec_lo, s1
	s_cbranch_execz .LBB16_46
; %bb.42:
	s_mov_b32 s0, exec_lo
	s_brev_b32 s1, -2
.LBB16_43:                              ; =>This Inner Loop Header: Depth=1
	s_ff1_i32_b32 s2, s0
	v_readlane_b32 s4, v0, s2
	s_lshl_b32 s2, 1, s2
	s_andn2_b32 s0, s0, s2
	s_min_i32 s1, s1, s4
	s_cmp_lg_u32 s0, 0
	s_cbranch_scc1 .LBB16_43
; %bb.44:
	v_mbcnt_lo_u32_b32 v0, exec_lo, 0
	s_mov_b32 s2, exec_lo
	v_cmpx_eq_u32_e32 0, v0
	s_xor_b32 s2, exec_lo, s2
	s_cbranch_execz .LBB16_46
; %bb.45:
	v_mov_b32_e32 v0, 0
	v_mov_b32_e32 v3, s1
	global_atomic_smin v0, v3, s[12:13]
.LBB16_46:
	s_or_b32 exec_lo, exec_lo, s3
	s_and_b32 exec_lo, exec_lo, vcc_lo
	s_cbranch_execz .LBB16_48
; %bb.47:
	v_add_co_u32 v0, vcc_lo, s8, v1
	v_add_co_ci_u32_e64 v1, null, s9, v2, vcc_lo
	v_mov_b32_e32 v2, 1
	s_waitcnt lgkmcnt(0)
	s_waitcnt_vscnt null, 0x0
	global_store_dword v[0:1], v2, off
.LBB16_48:
	s_endpgm
	.section	.rodata,"a",@progbits
	.p2align	6, 0x0
	.amdhsa_kernel _ZN9rocsparseL18csric0_hash_kernelILj256ELj32ELj4EdEEviPKiS2_PT2_S2_PiS2_S5_S5_d21rocsparse_index_base_
		.amdhsa_group_segment_fixed_size 8192
		.amdhsa_private_segment_fixed_size 0
		.amdhsa_kernarg_size 84
		.amdhsa_user_sgpr_count 6
		.amdhsa_user_sgpr_private_segment_buffer 1
		.amdhsa_user_sgpr_dispatch_ptr 0
		.amdhsa_user_sgpr_queue_ptr 0
		.amdhsa_user_sgpr_kernarg_segment_ptr 1
		.amdhsa_user_sgpr_dispatch_id 0
		.amdhsa_user_sgpr_flat_scratch_init 0
		.amdhsa_user_sgpr_private_segment_size 0
		.amdhsa_wavefront_size32 1
		.amdhsa_uses_dynamic_stack 0
		.amdhsa_system_sgpr_private_segment_wavefront_offset 0
		.amdhsa_system_sgpr_workgroup_id_x 1
		.amdhsa_system_sgpr_workgroup_id_y 0
		.amdhsa_system_sgpr_workgroup_id_z 0
		.amdhsa_system_sgpr_workgroup_info 0
		.amdhsa_system_vgpr_workitem_id 0
		.amdhsa_next_free_vgpr 38
		.amdhsa_next_free_sgpr 31
		.amdhsa_reserve_vcc 1
		.amdhsa_reserve_flat_scratch 0
		.amdhsa_float_round_mode_32 0
		.amdhsa_float_round_mode_16_64 0
		.amdhsa_float_denorm_mode_32 3
		.amdhsa_float_denorm_mode_16_64 3
		.amdhsa_dx10_clamp 1
		.amdhsa_ieee_mode 1
		.amdhsa_fp16_overflow 0
		.amdhsa_workgroup_processor_mode 1
		.amdhsa_memory_ordered 1
		.amdhsa_forward_progress 1
		.amdhsa_shared_vgpr_count 0
		.amdhsa_exception_fp_ieee_invalid_op 0
		.amdhsa_exception_fp_denorm_src 0
		.amdhsa_exception_fp_ieee_div_zero 0
		.amdhsa_exception_fp_ieee_overflow 0
		.amdhsa_exception_fp_ieee_underflow 0
		.amdhsa_exception_fp_ieee_inexact 0
		.amdhsa_exception_int_div_zero 0
	.end_amdhsa_kernel
	.section	.text._ZN9rocsparseL18csric0_hash_kernelILj256ELj32ELj4EdEEviPKiS2_PT2_S2_PiS2_S5_S5_d21rocsparse_index_base_,"axG",@progbits,_ZN9rocsparseL18csric0_hash_kernelILj256ELj32ELj4EdEEviPKiS2_PT2_S2_PiS2_S5_S5_d21rocsparse_index_base_,comdat
.Lfunc_end16:
	.size	_ZN9rocsparseL18csric0_hash_kernelILj256ELj32ELj4EdEEviPKiS2_PT2_S2_PiS2_S5_S5_d21rocsparse_index_base_, .Lfunc_end16-_ZN9rocsparseL18csric0_hash_kernelILj256ELj32ELj4EdEEviPKiS2_PT2_S2_PiS2_S5_S5_d21rocsparse_index_base_
                                        ; -- End function
	.set _ZN9rocsparseL18csric0_hash_kernelILj256ELj32ELj4EdEEviPKiS2_PT2_S2_PiS2_S5_S5_d21rocsparse_index_base_.num_vgpr, 38
	.set _ZN9rocsparseL18csric0_hash_kernelILj256ELj32ELj4EdEEviPKiS2_PT2_S2_PiS2_S5_S5_d21rocsparse_index_base_.num_agpr, 0
	.set _ZN9rocsparseL18csric0_hash_kernelILj256ELj32ELj4EdEEviPKiS2_PT2_S2_PiS2_S5_S5_d21rocsparse_index_base_.numbered_sgpr, 31
	.set _ZN9rocsparseL18csric0_hash_kernelILj256ELj32ELj4EdEEviPKiS2_PT2_S2_PiS2_S5_S5_d21rocsparse_index_base_.num_named_barrier, 0
	.set _ZN9rocsparseL18csric0_hash_kernelILj256ELj32ELj4EdEEviPKiS2_PT2_S2_PiS2_S5_S5_d21rocsparse_index_base_.private_seg_size, 0
	.set _ZN9rocsparseL18csric0_hash_kernelILj256ELj32ELj4EdEEviPKiS2_PT2_S2_PiS2_S5_S5_d21rocsparse_index_base_.uses_vcc, 1
	.set _ZN9rocsparseL18csric0_hash_kernelILj256ELj32ELj4EdEEviPKiS2_PT2_S2_PiS2_S5_S5_d21rocsparse_index_base_.uses_flat_scratch, 0
	.set _ZN9rocsparseL18csric0_hash_kernelILj256ELj32ELj4EdEEviPKiS2_PT2_S2_PiS2_S5_S5_d21rocsparse_index_base_.has_dyn_sized_stack, 0
	.set _ZN9rocsparseL18csric0_hash_kernelILj256ELj32ELj4EdEEviPKiS2_PT2_S2_PiS2_S5_S5_d21rocsparse_index_base_.has_recursion, 0
	.set _ZN9rocsparseL18csric0_hash_kernelILj256ELj32ELj4EdEEviPKiS2_PT2_S2_PiS2_S5_S5_d21rocsparse_index_base_.has_indirect_call, 0
	.section	.AMDGPU.csdata,"",@progbits
; Kernel info:
; codeLenInByte = 2332
; TotalNumSgprs: 33
; NumVgprs: 38
; ScratchSize: 0
; MemoryBound: 0
; FloatMode: 240
; IeeeMode: 1
; LDSByteSize: 8192 bytes/workgroup (compile time only)
; SGPRBlocks: 0
; VGPRBlocks: 4
; NumSGPRsForWavesPerEU: 33
; NumVGPRsForWavesPerEU: 38
; Occupancy: 16
; WaveLimiterHint : 1
; COMPUTE_PGM_RSRC2:SCRATCH_EN: 0
; COMPUTE_PGM_RSRC2:USER_SGPR: 6
; COMPUTE_PGM_RSRC2:TRAP_HANDLER: 0
; COMPUTE_PGM_RSRC2:TGID_X_EN: 1
; COMPUTE_PGM_RSRC2:TGID_Y_EN: 0
; COMPUTE_PGM_RSRC2:TGID_Z_EN: 0
; COMPUTE_PGM_RSRC2:TIDIG_COMP_CNT: 0
	.section	.text._ZN9rocsparseL18csric0_hash_kernelILj256ELj32ELj8EdEEviPKiS2_PT2_S2_PiS2_S5_S5_d21rocsparse_index_base_,"axG",@progbits,_ZN9rocsparseL18csric0_hash_kernelILj256ELj32ELj8EdEEviPKiS2_PT2_S2_PiS2_S5_S5_d21rocsparse_index_base_,comdat
	.globl	_ZN9rocsparseL18csric0_hash_kernelILj256ELj32ELj8EdEEviPKiS2_PT2_S2_PiS2_S5_S5_d21rocsparse_index_base_ ; -- Begin function _ZN9rocsparseL18csric0_hash_kernelILj256ELj32ELj8EdEEviPKiS2_PT2_S2_PiS2_S5_S5_d21rocsparse_index_base_
	.p2align	8
	.type	_ZN9rocsparseL18csric0_hash_kernelILj256ELj32ELj8EdEEviPKiS2_PT2_S2_PiS2_S5_S5_d21rocsparse_index_base_,@function
_ZN9rocsparseL18csric0_hash_kernelILj256ELj32ELj8EdEEviPKiS2_PT2_S2_PiS2_S5_S5_d21rocsparse_index_base_: ; @_ZN9rocsparseL18csric0_hash_kernelILj256ELj32ELj8EdEEviPKiS2_PT2_S2_PiS2_S5_S5_d21rocsparse_index_base_
; %bb.0:
	s_clause 0x1
	s_load_dwordx8 s[16:23], s[4:5], 0x8
	s_load_dwordx8 s[8:15], s[4:5], 0x28
	v_lshrrev_b32_e32 v1, 5, v0
	v_and_b32_e32 v20, 31, v0
	s_mov_b32 s0, 0
	v_lshlrev_b32_e32 v3, 10, v1
	v_lshlrev_b32_e32 v4, 2, v20
	v_or_b32_e32 v2, 0xffffffe0, v20
	v_or3_b32 v3, v3, v4, 0x2000
	v_mov_b32_e32 v4, -1
.LBB17_1:                               ; =>This Inner Loop Header: Depth=1
	v_add_nc_u32_e32 v2, 32, v2
	ds_write_b32 v3, v4
	v_add_nc_u32_e32 v3, 0x80, v3
	v_cmp_lt_u32_e32 vcc_lo, 0xdf, v2
	s_or_b32 s0, vcc_lo, s0
	s_andn2_b32 exec_lo, exec_lo, s0
	s_cbranch_execnz .LBB17_1
; %bb.2:
	s_or_b32 exec_lo, exec_lo, s0
	s_load_dword s0, s[4:5], 0x0
	s_lshl_b32 s1, s6, 3
	s_waitcnt lgkmcnt(0)
	buffer_gl0_inv
	v_and_or_b32 v1, 0x7fffff8, s1, v1
	v_cmp_gt_i32_e32 vcc_lo, s0, v1
	s_and_saveexec_b32 s0, vcc_lo
	s_cbranch_execz .LBB17_48
; %bb.3:
	v_lshlrev_b32_e32 v1, 2, v1
	s_load_dword s2, s[4:5], 0x50
	v_lshlrev_b32_e32 v0, 5, v0
	s_mov_b32 s0, exec_lo
	global_load_dword v3, v1, s[10:11]
	v_and_b32_e32 v0, 0x1c00, v0
	v_or_b32_e32 v21, 0x2000, v0
	s_waitcnt vmcnt(0)
	v_ashrrev_i32_e32 v4, 31, v3
	v_lshlrev_b64 v[1:2], 2, v[3:4]
	v_add_co_u32 v4, vcc_lo, s16, v1
	v_add_co_ci_u32_e64 v5, null, s17, v2, vcc_lo
	v_add_co_u32 v7, vcc_lo, s22, v1
	v_add_co_ci_u32_e64 v8, null, s23, v2, vcc_lo
	global_load_dwordx2 v[5:6], v[4:5], off
	global_load_dword v4, v[7:8], off
	s_waitcnt vmcnt(1) lgkmcnt(0)
	v_subrev_nc_u32_e32 v5, s2, v5
	v_subrev_nc_u32_e32 v8, s2, v6
	v_add_nc_u32_e32 v6, v5, v20
	v_cmpx_lt_i32_e64 v6, v8
	s_cbranch_execz .LBB17_13
; %bb.4:
	v_mov_b32_e32 v9, -1
	s_mov_b32 s1, 0
	s_branch .LBB17_6
.LBB17_5:                               ;   in Loop: Header=BB17_6 Depth=1
	s_or_b32 exec_lo, exec_lo, s3
	v_add_nc_u32_e32 v6, 32, v6
	v_cmp_ge_i32_e32 vcc_lo, v6, v8
	s_or_b32 s1, vcc_lo, s1
	s_andn2_b32 exec_lo, exec_lo, s1
	s_cbranch_execz .LBB17_13
.LBB17_6:                               ; =>This Loop Header: Depth=1
                                        ;     Child Loop BB17_9 Depth 2
	v_ashrrev_i32_e32 v7, 31, v6
	s_mov_b32 s3, exec_lo
	v_lshlrev_b64 v[10:11], 2, v[6:7]
	v_add_co_u32 v10, vcc_lo, s18, v10
	v_add_co_ci_u32_e64 v11, null, s19, v11, vcc_lo
	global_load_dword v7, v[10:11], off
	s_waitcnt vmcnt(0)
	v_mul_lo_u32 v10, 0x67, v7
	v_and_b32_e32 v10, 0xff, v10
	v_lshl_add_u32 v11, v10, 2, v21
	ds_read_b32 v12, v11
	s_waitcnt lgkmcnt(0)
	v_cmpx_ne_u32_e64 v12, v7
	s_cbranch_execz .LBB17_5
; %bb.7:                                ;   in Loop: Header=BB17_6 Depth=1
	s_mov_b32 s6, 0
                                        ; implicit-def: $sgpr7
                                        ; implicit-def: $sgpr11
                                        ; implicit-def: $sgpr10
	s_inst_prefetch 0x1
	s_branch .LBB17_9
	.p2align	6
.LBB17_8:                               ;   in Loop: Header=BB17_9 Depth=2
	s_or_b32 exec_lo, exec_lo, s24
	s_and_b32 s24, exec_lo, s11
	s_or_b32 s6, s24, s6
	s_andn2_b32 s7, s7, exec_lo
	s_and_b32 s24, s10, exec_lo
	s_or_b32 s7, s7, s24
	s_andn2_b32 exec_lo, exec_lo, s6
	s_cbranch_execz .LBB17_11
.LBB17_9:                               ;   Parent Loop BB17_6 Depth=1
                                        ; =>  This Inner Loop Header: Depth=2
	ds_cmpst_rtn_b32 v11, v11, v9, v7
	v_mov_b32_e32 v12, v10
	s_or_b32 s10, s10, exec_lo
	s_or_b32 s11, s11, exec_lo
                                        ; implicit-def: $vgpr10
	s_waitcnt lgkmcnt(0)
	v_cmp_ne_u32_e32 vcc_lo, -1, v11
                                        ; implicit-def: $vgpr11
	s_and_saveexec_b32 s24, vcc_lo
	s_cbranch_execz .LBB17_8
; %bb.10:                               ;   in Loop: Header=BB17_9 Depth=2
	v_add_nc_u32_e32 v10, 1, v12
	s_andn2_b32 s11, s11, exec_lo
	s_andn2_b32 s10, s10, exec_lo
	v_and_b32_e32 v10, 0xff, v10
	v_lshl_add_u32 v11, v10, 2, v21
	ds_read_b32 v13, v11
	s_waitcnt lgkmcnt(0)
	v_cmp_eq_u32_e32 vcc_lo, v13, v7
	s_and_b32 s25, vcc_lo, exec_lo
	s_or_b32 s11, s11, s25
	s_branch .LBB17_8
.LBB17_11:                              ;   in Loop: Header=BB17_6 Depth=1
	s_inst_prefetch 0x2
	s_or_b32 exec_lo, exec_lo, s6
	s_and_saveexec_b32 s6, s7
	s_xor_b32 s6, exec_lo, s6
	s_cbranch_execz .LBB17_5
; %bb.12:                               ;   in Loop: Header=BB17_6 Depth=1
	v_lshl_add_u32 v7, v12, 2, v0
	ds_write_b32 v7, v6
	s_branch .LBB17_5
.LBB17_13:
	s_or_b32 exec_lo, exec_lo, s0
	v_mov_b32_e32 v7, 0
	v_mov_b32_e32 v8, 0
	s_mov_b32 s3, exec_lo
	s_waitcnt vmcnt(0) lgkmcnt(0)
	buffer_gl0_inv
	v_cmpx_lt_i32_e64 v5, v4
	s_cbranch_execz .LBB17_35
; %bb.14:
	v_mbcnt_lo_u32_b32 v22, -1, 0
	v_mov_b32_e32 v7, 0
	v_add_nc_u32_e32 v23, -1, v4
	v_subrev_nc_u32_e32 v24, s2, v20
	v_cmp_eq_u32_e64 s0, 31, v20
	v_mov_b32_e32 v8, 0
	v_xor_b32_e32 v25, 16, v22
	v_xor_b32_e32 v26, 8, v22
	;; [unrolled: 1-line block ×5, first 2 shown]
	s_mov_b32 s6, 0
	s_branch .LBB17_17
.LBB17_15:                              ;   in Loop: Header=BB17_17 Depth=1
	s_or_b32 exec_lo, exec_lo, s10
.LBB17_16:                              ;   in Loop: Header=BB17_17 Depth=1
	s_or_b32 exec_lo, exec_lo, s7
	v_add_nc_u32_e32 v5, 1, v5
	s_xor_b32 s1, s1, -1
	v_cmp_ge_i32_e32 vcc_lo, v5, v4
	s_or_b32 s1, s1, vcc_lo
	s_and_b32 s1, exec_lo, s1
	s_or_b32 s6, s1, s6
	s_andn2_b32 exec_lo, exec_lo, s6
	s_cbranch_execz .LBB17_34
.LBB17_17:                              ; =>This Loop Header: Depth=1
                                        ;     Child Loop BB17_18 Depth 2
                                        ;     Child Loop BB17_24 Depth 2
                                        ;       Child Loop BB17_27 Depth 3
	v_ashrrev_i32_e32 v6, 31, v5
	s_mov_b32 s1, 0
	v_lshlrev_b64 v[9:10], 2, v[5:6]
	v_lshlrev_b64 v[11:12], 3, v[5:6]
	v_add_co_u32 v9, vcc_lo, s18, v9
	v_add_co_ci_u32_e64 v10, null, s19, v10, vcc_lo
	global_load_dword v9, v[9:10], off
	s_waitcnt vmcnt(0)
	v_subrev_nc_u32_e32 v9, s2, v9
	v_ashrrev_i32_e32 v10, 31, v9
	v_lshlrev_b64 v[13:14], 2, v[9:10]
	v_add_co_u32 v9, vcc_lo, s20, v11
	v_add_co_ci_u32_e64 v10, null, s21, v12, vcc_lo
	v_add_co_u32 v15, vcc_lo, s16, v13
	v_add_co_ci_u32_e64 v16, null, s17, v14, vcc_lo
	s_waitcnt lgkmcnt(1)
	v_add_co_u32 v17, vcc_lo, s22, v13
	s_waitcnt lgkmcnt(0)
	v_add_co_ci_u32_e64 v18, null, s23, v14, vcc_lo
	global_load_dwordx2 v[11:12], v[9:10], off
	global_load_dword v6, v[15:16], off
	global_load_dword v15, v[17:18], off
	v_add_co_u32 v13, vcc_lo, s8, v13
	v_add_co_ci_u32_e64 v14, null, s9, v14, vcc_lo
.LBB17_18:                              ;   Parent Loop BB17_17 Depth=1
                                        ; =>  This Inner Loop Header: Depth=2
	global_load_dword v16, v[13:14], off glc dlc
	s_waitcnt vmcnt(0)
	v_cmp_ne_u32_e32 vcc_lo, 0, v16
	s_or_b32 s1, vcc_lo, s1
	s_andn2_b32 exec_lo, exec_lo, s1
	s_cbranch_execnz .LBB17_18
; %bb.19:                               ;   in Loop: Header=BB17_17 Depth=1
	s_or_b32 exec_lo, exec_lo, s1
	v_cmp_eq_u32_e32 vcc_lo, -1, v15
	buffer_gl1_inv
	buffer_gl0_inv
	v_cndmask_b32_e32 v15, v15, v23, vcc_lo
	v_ashrrev_i32_e32 v16, 31, v15
	v_lshlrev_b64 v[13:14], 3, v[15:16]
	v_add_co_u32 v13, vcc_lo, s20, v13
	v_add_co_ci_u32_e64 v14, null, s21, v14, vcc_lo
	global_load_dwordx2 v[13:14], v[13:14], off
	s_waitcnt vmcnt(0)
	v_cmp_neq_f64_e64 s1, 0, v[13:14]
	s_and_saveexec_b32 s7, s1
	s_cbranch_execz .LBB17_16
; %bb.20:                               ;   in Loop: Header=BB17_17 Depth=1
	v_mov_b32_e32 v16, 0
	v_add_nc_u32_e32 v18, v24, v6
	v_mov_b32_e32 v17, 0
	s_mov_b32 s10, exec_lo
	v_cmpx_lt_i32_e64 v18, v15
	s_cbranch_execz .LBB17_32
; %bb.21:                               ;   in Loop: Header=BB17_17 Depth=1
	v_mov_b32_e32 v16, 0
	v_mov_b32_e32 v17, 0
	s_mov_b32 s11, 0
	s_branch .LBB17_24
.LBB17_22:                              ;   in Loop: Header=BB17_24 Depth=2
	s_or_b32 exec_lo, exec_lo, s25
.LBB17_23:                              ;   in Loop: Header=BB17_24 Depth=2
	s_or_b32 exec_lo, exec_lo, s24
	v_add_nc_u32_e32 v18, 32, v18
	v_cmp_ge_i32_e32 vcc_lo, v18, v15
	s_or_b32 s11, vcc_lo, s11
	s_andn2_b32 exec_lo, exec_lo, s11
	s_cbranch_execz .LBB17_31
.LBB17_24:                              ;   Parent Loop BB17_17 Depth=1
                                        ; =>  This Loop Header: Depth=2
                                        ;       Child Loop BB17_27 Depth 3
	v_ashrrev_i32_e32 v19, 31, v18
	s_mov_b32 s24, exec_lo
	v_lshlrev_b64 v[30:31], 2, v[18:19]
	v_add_co_u32 v30, vcc_lo, s18, v30
	v_add_co_ci_u32_e64 v31, null, s19, v31, vcc_lo
	global_load_dword v6, v[30:31], off
	s_waitcnt vmcnt(0)
	v_mul_lo_u32 v30, 0x67, v6
	v_and_b32_e32 v32, 0xff, v30
	v_lshl_add_u32 v30, v32, 2, v21
	ds_read_b32 v31, v30
	s_waitcnt lgkmcnt(0)
	v_cmpx_ne_u32_e32 -1, v31
	s_cbranch_execz .LBB17_23
; %bb.25:                               ;   in Loop: Header=BB17_24 Depth=2
	s_mov_b32 s25, 0
                                        ; implicit-def: $sgpr26
                                        ; implicit-def: $sgpr28
                                        ; implicit-def: $sgpr27
	s_inst_prefetch 0x1
	s_branch .LBB17_27
	.p2align	6
.LBB17_26:                              ;   in Loop: Header=BB17_27 Depth=3
	s_or_b32 exec_lo, exec_lo, s29
	s_and_b32 s29, exec_lo, s28
	s_or_b32 s25, s29, s25
	s_andn2_b32 s26, s26, exec_lo
	s_and_b32 s29, s27, exec_lo
	s_or_b32 s26, s26, s29
	s_andn2_b32 exec_lo, exec_lo, s25
	s_cbranch_execz .LBB17_29
.LBB17_27:                              ;   Parent Loop BB17_17 Depth=1
                                        ;     Parent Loop BB17_24 Depth=2
                                        ; =>    This Inner Loop Header: Depth=3
	v_mov_b32_e32 v30, v32
	v_cmp_ne_u32_e32 vcc_lo, v31, v6
	s_or_b32 s27, s27, exec_lo
	s_or_b32 s28, s28, exec_lo
                                        ; implicit-def: $vgpr32
                                        ; implicit-def: $vgpr31
	s_and_saveexec_b32 s29, vcc_lo
	s_cbranch_execz .LBB17_26
; %bb.28:                               ;   in Loop: Header=BB17_27 Depth=3
	v_add_nc_u32_e32 v31, 1, v30
	s_andn2_b32 s28, s28, exec_lo
	s_andn2_b32 s27, s27, exec_lo
	v_and_b32_e32 v32, 0xff, v31
	v_lshl_add_u32 v31, v32, 2, v21
	ds_read_b32 v31, v31
	s_waitcnt lgkmcnt(0)
	v_cmp_eq_u32_e32 vcc_lo, -1, v31
	s_and_b32 s30, vcc_lo, exec_lo
	s_or_b32 s28, s28, s30
	s_branch .LBB17_26
.LBB17_29:                              ;   in Loop: Header=BB17_24 Depth=2
	s_inst_prefetch 0x2
	s_or_b32 exec_lo, exec_lo, s25
	s_and_saveexec_b32 s25, s26
	s_xor_b32 s25, exec_lo, s25
	s_cbranch_execz .LBB17_22
; %bb.30:                               ;   in Loop: Header=BB17_24 Depth=2
	v_lshl_add_u32 v6, v30, 2, v0
	v_lshlrev_b64 v[32:33], 3, v[18:19]
	ds_read_b32 v30, v6
	v_add_co_u32 v32, vcc_lo, s20, v32
	v_add_co_ci_u32_e64 v33, null, s21, v33, vcc_lo
	s_waitcnt lgkmcnt(0)
	v_ashrrev_i32_e32 v31, 31, v30
	v_lshlrev_b64 v[30:31], 3, v[30:31]
	v_add_co_u32 v30, vcc_lo, s20, v30
	v_add_co_ci_u32_e64 v31, null, s21, v31, vcc_lo
	s_clause 0x1
	global_load_dwordx2 v[32:33], v[32:33], off
	global_load_dwordx2 v[30:31], v[30:31], off
	s_waitcnt vmcnt(0)
	v_fma_f64 v[16:17], v[32:33], v[30:31], v[16:17]
	s_branch .LBB17_22
.LBB17_31:                              ;   in Loop: Header=BB17_17 Depth=1
	s_or_b32 exec_lo, exec_lo, s11
.LBB17_32:                              ;   in Loop: Header=BB17_17 Depth=1
	s_or_b32 exec_lo, exec_lo, s10
	v_cmp_gt_i32_e32 vcc_lo, 32, v25
	v_cndmask_b32_e32 v6, v22, v25, vcc_lo
	v_cmp_gt_i32_e32 vcc_lo, 32, v26
	v_lshlrev_b32_e32 v6, 2, v6
	ds_bpermute_b32 v18, v6, v16
	ds_bpermute_b32 v19, v6, v17
	v_cndmask_b32_e32 v6, v22, v26, vcc_lo
	v_cmp_gt_i32_e32 vcc_lo, 32, v27
	v_lshlrev_b32_e32 v6, 2, v6
	s_waitcnt lgkmcnt(0)
	v_add_f64 v[15:16], v[16:17], v[18:19]
	ds_bpermute_b32 v17, v6, v15
	ds_bpermute_b32 v18, v6, v16
	v_cndmask_b32_e32 v6, v22, v27, vcc_lo
	v_cmp_gt_i32_e32 vcc_lo, 32, v28
	v_lshlrev_b32_e32 v6, 2, v6
	s_waitcnt lgkmcnt(0)
	v_add_f64 v[15:16], v[15:16], v[17:18]
	;; [unrolled: 7-line block ×3, first 2 shown]
	ds_bpermute_b32 v17, v6, v15
	ds_bpermute_b32 v18, v6, v16
	v_cndmask_b32_e32 v6, v22, v29, vcc_lo
	v_lshlrev_b32_e32 v6, 2, v6
	s_waitcnt lgkmcnt(0)
	v_add_f64 v[15:16], v[15:16], v[17:18]
	ds_bpermute_b32 v17, v6, v15
	ds_bpermute_b32 v18, v6, v16
	s_and_saveexec_b32 s10, s0
	s_cbranch_execz .LBB17_15
; %bb.33:                               ;   in Loop: Header=BB17_17 Depth=1
	v_div_scale_f64 v[30:31], null, v[13:14], v[13:14], 1.0
	v_div_scale_f64 v[36:37], vcc_lo, 1.0, v[13:14], 1.0
	s_waitcnt lgkmcnt(0)
	v_add_f64 v[15:16], v[15:16], v[17:18]
	v_rcp_f64_e32 v[32:33], v[30:31]
	v_add_f64 v[11:12], v[11:12], -v[15:16]
	v_fma_f64 v[34:35], -v[30:31], v[32:33], 1.0
	v_fma_f64 v[32:33], v[32:33], v[34:35], v[32:33]
	v_fma_f64 v[34:35], -v[30:31], v[32:33], 1.0
	v_fma_f64 v[32:33], v[32:33], v[34:35], v[32:33]
	v_mul_f64 v[34:35], v[36:37], v[32:33]
	v_fma_f64 v[30:31], -v[30:31], v[34:35], v[36:37]
	v_div_fmas_f64 v[30:31], v[30:31], v[32:33], v[34:35]
	v_div_fixup_f64 v[13:14], v[30:31], v[13:14], 1.0
	v_mul_f64 v[11:12], v[13:14], v[11:12]
	v_fma_f64 v[7:8], v[11:12], v[11:12], v[7:8]
	global_store_dwordx2 v[9:10], v[11:12], off
	s_branch .LBB17_15
.LBB17_34:
	s_or_b32 exec_lo, exec_lo, s6
.LBB17_35:
	s_or_b32 exec_lo, exec_lo, s3
	v_cmp_eq_u32_e32 vcc_lo, 31, v20
	v_cmp_lt_i32_e64 s0, -1, v4
	s_and_b32 s0, vcc_lo, s0
	s_and_saveexec_b32 s3, s0
	s_cbranch_execz .LBB17_46
; %bb.36:
	v_mov_b32_e32 v5, 0
	v_add_nc_u32_e32 v0, s2, v3
	v_lshlrev_b64 v[4:5], 3, v[4:5]
	v_add_co_u32 v4, s0, s20, v4
	v_add_co_ci_u32_e64 v5, null, s21, v5, s0
	s_load_dwordx2 s[0:1], s[4:5], 0x48
	global_load_dwordx2 v[9:10], v[4:5], off
	s_waitcnt lgkmcnt(0)
	v_mul_f64 v[11:12], s[0:1], s[0:1]
	s_mov_b32 s1, exec_lo
	s_waitcnt vmcnt(0)
	v_add_f64 v[6:7], v[9:10], -v[7:8]
	v_cmpx_le_f64_e32 v[6:7], v[11:12]
	s_cbranch_execz .LBB17_41
; %bb.37:
	s_mov_b32 s0, exec_lo
	s_brev_b32 s2, -2
.LBB17_38:                              ; =>This Inner Loop Header: Depth=1
	s_ff1_i32_b32 s4, s0
	v_readlane_b32 s5, v0, s4
	s_lshl_b32 s4, 1, s4
	s_andn2_b32 s0, s0, s4
	s_min_i32 s2, s2, s5
	s_cmp_lg_u32 s0, 0
	s_cbranch_scc1 .LBB17_38
; %bb.39:
	v_mbcnt_lo_u32_b32 v3, exec_lo, 0
	s_mov_b32 s4, exec_lo
	v_cmpx_eq_u32_e32 0, v3
	s_xor_b32 s4, exec_lo, s4
	s_cbranch_execz .LBB17_41
; %bb.40:
	v_mov_b32_e32 v3, 0
	v_mov_b32_e32 v8, s2
	global_atomic_smin v3, v8, s[14:15]
.LBB17_41:
	s_or_b32 exec_lo, exec_lo, s1
	v_cmp_gt_f64_e64 s0, 0, v[6:7]
	v_xor_b32_e32 v3, 0x80000000, v7
	v_mov_b32_e32 v8, v6
	v_cmp_eq_f64_e64 s1, 0, v[6:7]
	v_cndmask_b32_e64 v9, v7, v3, s0
	v_cmp_gt_f64_e64 s0, 0x10000000, v[8:9]
	v_cndmask_b32_e64 v3, 0, 0x100, s0
	v_ldexp_f64 v[8:9], v[8:9], v3
	v_cndmask_b32_e64 v3, 0, 0xffffff80, s0
	v_rsq_f64_e32 v[10:11], v[8:9]
	v_cmp_class_f64_e64 s0, v[8:9], 0x260
	v_mul_f64 v[12:13], v[8:9], v[10:11]
	v_mul_f64 v[10:11], v[10:11], 0.5
	v_fma_f64 v[14:15], -v[10:11], v[12:13], 0.5
	v_fma_f64 v[12:13], v[12:13], v[14:15], v[12:13]
	v_fma_f64 v[10:11], v[10:11], v[14:15], v[10:11]
	v_fma_f64 v[14:15], -v[12:13], v[12:13], v[8:9]
	v_fma_f64 v[12:13], v[14:15], v[10:11], v[12:13]
	v_fma_f64 v[14:15], -v[12:13], v[12:13], v[8:9]
	v_fma_f64 v[10:11], v[14:15], v[10:11], v[12:13]
	v_ldexp_f64 v[10:11], v[10:11], v3
	v_cndmask_b32_e64 v7, v11, v9, s0
	v_cndmask_b32_e64 v6, v10, v8, s0
	global_store_dwordx2 v[4:5], v[6:7], off
	s_and_b32 exec_lo, exec_lo, s1
	s_cbranch_execz .LBB17_46
; %bb.42:
	s_mov_b32 s0, exec_lo
	s_brev_b32 s1, -2
.LBB17_43:                              ; =>This Inner Loop Header: Depth=1
	s_ff1_i32_b32 s2, s0
	v_readlane_b32 s4, v0, s2
	s_lshl_b32 s2, 1, s2
	s_andn2_b32 s0, s0, s2
	s_min_i32 s1, s1, s4
	s_cmp_lg_u32 s0, 0
	s_cbranch_scc1 .LBB17_43
; %bb.44:
	v_mbcnt_lo_u32_b32 v0, exec_lo, 0
	s_mov_b32 s2, exec_lo
	v_cmpx_eq_u32_e32 0, v0
	s_xor_b32 s2, exec_lo, s2
	s_cbranch_execz .LBB17_46
; %bb.45:
	v_mov_b32_e32 v0, 0
	v_mov_b32_e32 v3, s1
	global_atomic_smin v0, v3, s[12:13]
.LBB17_46:
	s_or_b32 exec_lo, exec_lo, s3
	s_and_b32 exec_lo, exec_lo, vcc_lo
	s_cbranch_execz .LBB17_48
; %bb.47:
	v_add_co_u32 v0, vcc_lo, s8, v1
	v_add_co_ci_u32_e64 v1, null, s9, v2, vcc_lo
	v_mov_b32_e32 v2, 1
	s_waitcnt lgkmcnt(0)
	s_waitcnt_vscnt null, 0x0
	global_store_dword v[0:1], v2, off
.LBB17_48:
	s_endpgm
	.section	.rodata,"a",@progbits
	.p2align	6, 0x0
	.amdhsa_kernel _ZN9rocsparseL18csric0_hash_kernelILj256ELj32ELj8EdEEviPKiS2_PT2_S2_PiS2_S5_S5_d21rocsparse_index_base_
		.amdhsa_group_segment_fixed_size 16384
		.amdhsa_private_segment_fixed_size 0
		.amdhsa_kernarg_size 84
		.amdhsa_user_sgpr_count 6
		.amdhsa_user_sgpr_private_segment_buffer 1
		.amdhsa_user_sgpr_dispatch_ptr 0
		.amdhsa_user_sgpr_queue_ptr 0
		.amdhsa_user_sgpr_kernarg_segment_ptr 1
		.amdhsa_user_sgpr_dispatch_id 0
		.amdhsa_user_sgpr_flat_scratch_init 0
		.amdhsa_user_sgpr_private_segment_size 0
		.amdhsa_wavefront_size32 1
		.amdhsa_uses_dynamic_stack 0
		.amdhsa_system_sgpr_private_segment_wavefront_offset 0
		.amdhsa_system_sgpr_workgroup_id_x 1
		.amdhsa_system_sgpr_workgroup_id_y 0
		.amdhsa_system_sgpr_workgroup_id_z 0
		.amdhsa_system_sgpr_workgroup_info 0
		.amdhsa_system_vgpr_workitem_id 0
		.amdhsa_next_free_vgpr 38
		.amdhsa_next_free_sgpr 31
		.amdhsa_reserve_vcc 1
		.amdhsa_reserve_flat_scratch 0
		.amdhsa_float_round_mode_32 0
		.amdhsa_float_round_mode_16_64 0
		.amdhsa_float_denorm_mode_32 3
		.amdhsa_float_denorm_mode_16_64 3
		.amdhsa_dx10_clamp 1
		.amdhsa_ieee_mode 1
		.amdhsa_fp16_overflow 0
		.amdhsa_workgroup_processor_mode 1
		.amdhsa_memory_ordered 1
		.amdhsa_forward_progress 1
		.amdhsa_shared_vgpr_count 0
		.amdhsa_exception_fp_ieee_invalid_op 0
		.amdhsa_exception_fp_denorm_src 0
		.amdhsa_exception_fp_ieee_div_zero 0
		.amdhsa_exception_fp_ieee_overflow 0
		.amdhsa_exception_fp_ieee_underflow 0
		.amdhsa_exception_fp_ieee_inexact 0
		.amdhsa_exception_int_div_zero 0
	.end_amdhsa_kernel
	.section	.text._ZN9rocsparseL18csric0_hash_kernelILj256ELj32ELj8EdEEviPKiS2_PT2_S2_PiS2_S5_S5_d21rocsparse_index_base_,"axG",@progbits,_ZN9rocsparseL18csric0_hash_kernelILj256ELj32ELj8EdEEviPKiS2_PT2_S2_PiS2_S5_S5_d21rocsparse_index_base_,comdat
.Lfunc_end17:
	.size	_ZN9rocsparseL18csric0_hash_kernelILj256ELj32ELj8EdEEviPKiS2_PT2_S2_PiS2_S5_S5_d21rocsparse_index_base_, .Lfunc_end17-_ZN9rocsparseL18csric0_hash_kernelILj256ELj32ELj8EdEEviPKiS2_PT2_S2_PiS2_S5_S5_d21rocsparse_index_base_
                                        ; -- End function
	.set _ZN9rocsparseL18csric0_hash_kernelILj256ELj32ELj8EdEEviPKiS2_PT2_S2_PiS2_S5_S5_d21rocsparse_index_base_.num_vgpr, 38
	.set _ZN9rocsparseL18csric0_hash_kernelILj256ELj32ELj8EdEEviPKiS2_PT2_S2_PiS2_S5_S5_d21rocsparse_index_base_.num_agpr, 0
	.set _ZN9rocsparseL18csric0_hash_kernelILj256ELj32ELj8EdEEviPKiS2_PT2_S2_PiS2_S5_S5_d21rocsparse_index_base_.numbered_sgpr, 31
	.set _ZN9rocsparseL18csric0_hash_kernelILj256ELj32ELj8EdEEviPKiS2_PT2_S2_PiS2_S5_S5_d21rocsparse_index_base_.num_named_barrier, 0
	.set _ZN9rocsparseL18csric0_hash_kernelILj256ELj32ELj8EdEEviPKiS2_PT2_S2_PiS2_S5_S5_d21rocsparse_index_base_.private_seg_size, 0
	.set _ZN9rocsparseL18csric0_hash_kernelILj256ELj32ELj8EdEEviPKiS2_PT2_S2_PiS2_S5_S5_d21rocsparse_index_base_.uses_vcc, 1
	.set _ZN9rocsparseL18csric0_hash_kernelILj256ELj32ELj8EdEEviPKiS2_PT2_S2_PiS2_S5_S5_d21rocsparse_index_base_.uses_flat_scratch, 0
	.set _ZN9rocsparseL18csric0_hash_kernelILj256ELj32ELj8EdEEviPKiS2_PT2_S2_PiS2_S5_S5_d21rocsparse_index_base_.has_dyn_sized_stack, 0
	.set _ZN9rocsparseL18csric0_hash_kernelILj256ELj32ELj8EdEEviPKiS2_PT2_S2_PiS2_S5_S5_d21rocsparse_index_base_.has_recursion, 0
	.set _ZN9rocsparseL18csric0_hash_kernelILj256ELj32ELj8EdEEviPKiS2_PT2_S2_PiS2_S5_S5_d21rocsparse_index_base_.has_indirect_call, 0
	.section	.AMDGPU.csdata,"",@progbits
; Kernel info:
; codeLenInByte = 2332
; TotalNumSgprs: 33
; NumVgprs: 38
; ScratchSize: 0
; MemoryBound: 0
; FloatMode: 240
; IeeeMode: 1
; LDSByteSize: 16384 bytes/workgroup (compile time only)
; SGPRBlocks: 0
; VGPRBlocks: 4
; NumSGPRsForWavesPerEU: 33
; NumVGPRsForWavesPerEU: 38
; Occupancy: 16
; WaveLimiterHint : 1
; COMPUTE_PGM_RSRC2:SCRATCH_EN: 0
; COMPUTE_PGM_RSRC2:USER_SGPR: 6
; COMPUTE_PGM_RSRC2:TRAP_HANDLER: 0
; COMPUTE_PGM_RSRC2:TGID_X_EN: 1
; COMPUTE_PGM_RSRC2:TGID_Y_EN: 0
; COMPUTE_PGM_RSRC2:TGID_Z_EN: 0
; COMPUTE_PGM_RSRC2:TIDIG_COMP_CNT: 0
	.section	.text._ZN9rocsparseL18csric0_hash_kernelILj256ELj32ELj16EdEEviPKiS2_PT2_S2_PiS2_S5_S5_d21rocsparse_index_base_,"axG",@progbits,_ZN9rocsparseL18csric0_hash_kernelILj256ELj32ELj16EdEEviPKiS2_PT2_S2_PiS2_S5_S5_d21rocsparse_index_base_,comdat
	.globl	_ZN9rocsparseL18csric0_hash_kernelILj256ELj32ELj16EdEEviPKiS2_PT2_S2_PiS2_S5_S5_d21rocsparse_index_base_ ; -- Begin function _ZN9rocsparseL18csric0_hash_kernelILj256ELj32ELj16EdEEviPKiS2_PT2_S2_PiS2_S5_S5_d21rocsparse_index_base_
	.p2align	8
	.type	_ZN9rocsparseL18csric0_hash_kernelILj256ELj32ELj16EdEEviPKiS2_PT2_S2_PiS2_S5_S5_d21rocsparse_index_base_,@function
_ZN9rocsparseL18csric0_hash_kernelILj256ELj32ELj16EdEEviPKiS2_PT2_S2_PiS2_S5_S5_d21rocsparse_index_base_: ; @_ZN9rocsparseL18csric0_hash_kernelILj256ELj32ELj16EdEEviPKiS2_PT2_S2_PiS2_S5_S5_d21rocsparse_index_base_
; %bb.0:
	s_clause 0x1
	s_load_dwordx8 s[16:23], s[4:5], 0x8
	s_load_dwordx8 s[8:15], s[4:5], 0x28
	v_lshrrev_b32_e32 v1, 5, v0
	v_and_b32_e32 v20, 31, v0
	s_mov_b32 s0, 0
	v_lshlrev_b32_e32 v3, 11, v1
	v_lshlrev_b32_e32 v4, 2, v20
	v_or_b32_e32 v2, 0xffffffe0, v20
	v_or3_b32 v3, v3, v4, 0x4000
	v_mov_b32_e32 v4, -1
.LBB18_1:                               ; =>This Inner Loop Header: Depth=1
	v_add_nc_u32_e32 v2, 32, v2
	ds_write_b32 v3, v4
	v_add_nc_u32_e32 v3, 0x80, v3
	v_cmp_lt_u32_e32 vcc_lo, 0x1df, v2
	s_or_b32 s0, vcc_lo, s0
	s_andn2_b32 exec_lo, exec_lo, s0
	s_cbranch_execnz .LBB18_1
; %bb.2:
	s_or_b32 exec_lo, exec_lo, s0
	s_load_dword s0, s[4:5], 0x0
	s_lshl_b32 s1, s6, 3
	s_waitcnt lgkmcnt(0)
	buffer_gl0_inv
	v_and_or_b32 v1, 0x7fffff8, s1, v1
	v_cmp_gt_i32_e32 vcc_lo, s0, v1
	s_and_saveexec_b32 s0, vcc_lo
	s_cbranch_execz .LBB18_48
; %bb.3:
	v_lshlrev_b32_e32 v1, 2, v1
	s_load_dword s2, s[4:5], 0x50
	v_lshlrev_b32_e32 v0, 6, v0
	s_mov_b32 s0, exec_lo
	global_load_dword v3, v1, s[10:11]
	v_and_b32_e32 v0, 0x3800, v0
	v_or_b32_e32 v21, 0x4000, v0
	s_waitcnt vmcnt(0)
	v_ashrrev_i32_e32 v4, 31, v3
	v_lshlrev_b64 v[1:2], 2, v[3:4]
	v_add_co_u32 v4, vcc_lo, s16, v1
	v_add_co_ci_u32_e64 v5, null, s17, v2, vcc_lo
	v_add_co_u32 v7, vcc_lo, s22, v1
	v_add_co_ci_u32_e64 v8, null, s23, v2, vcc_lo
	global_load_dwordx2 v[5:6], v[4:5], off
	global_load_dword v4, v[7:8], off
	s_waitcnt vmcnt(1) lgkmcnt(0)
	v_subrev_nc_u32_e32 v5, s2, v5
	v_subrev_nc_u32_e32 v8, s2, v6
	v_add_nc_u32_e32 v6, v5, v20
	v_cmpx_lt_i32_e64 v6, v8
	s_cbranch_execz .LBB18_13
; %bb.4:
	v_mov_b32_e32 v9, -1
	s_mov_b32 s1, 0
	s_branch .LBB18_6
.LBB18_5:                               ;   in Loop: Header=BB18_6 Depth=1
	s_or_b32 exec_lo, exec_lo, s3
	v_add_nc_u32_e32 v6, 32, v6
	v_cmp_ge_i32_e32 vcc_lo, v6, v8
	s_or_b32 s1, vcc_lo, s1
	s_andn2_b32 exec_lo, exec_lo, s1
	s_cbranch_execz .LBB18_13
.LBB18_6:                               ; =>This Loop Header: Depth=1
                                        ;     Child Loop BB18_9 Depth 2
	v_ashrrev_i32_e32 v7, 31, v6
	s_mov_b32 s3, exec_lo
	v_lshlrev_b64 v[10:11], 2, v[6:7]
	v_add_co_u32 v10, vcc_lo, s18, v10
	v_add_co_ci_u32_e64 v11, null, s19, v11, vcc_lo
	global_load_dword v7, v[10:11], off
	s_waitcnt vmcnt(0)
	v_mul_lo_u32 v10, 0x67, v7
	v_and_b32_e32 v10, 0x1ff, v10
	v_lshl_add_u32 v11, v10, 2, v21
	ds_read_b32 v12, v11
	s_waitcnt lgkmcnt(0)
	v_cmpx_ne_u32_e64 v12, v7
	s_cbranch_execz .LBB18_5
; %bb.7:                                ;   in Loop: Header=BB18_6 Depth=1
	s_mov_b32 s6, 0
                                        ; implicit-def: $sgpr7
                                        ; implicit-def: $sgpr11
                                        ; implicit-def: $sgpr10
	s_inst_prefetch 0x1
	s_branch .LBB18_9
	.p2align	6
.LBB18_8:                               ;   in Loop: Header=BB18_9 Depth=2
	s_or_b32 exec_lo, exec_lo, s24
	s_and_b32 s24, exec_lo, s11
	s_or_b32 s6, s24, s6
	s_andn2_b32 s7, s7, exec_lo
	s_and_b32 s24, s10, exec_lo
	s_or_b32 s7, s7, s24
	s_andn2_b32 exec_lo, exec_lo, s6
	s_cbranch_execz .LBB18_11
.LBB18_9:                               ;   Parent Loop BB18_6 Depth=1
                                        ; =>  This Inner Loop Header: Depth=2
	ds_cmpst_rtn_b32 v11, v11, v9, v7
	v_mov_b32_e32 v12, v10
	s_or_b32 s10, s10, exec_lo
	s_or_b32 s11, s11, exec_lo
                                        ; implicit-def: $vgpr10
	s_waitcnt lgkmcnt(0)
	v_cmp_ne_u32_e32 vcc_lo, -1, v11
                                        ; implicit-def: $vgpr11
	s_and_saveexec_b32 s24, vcc_lo
	s_cbranch_execz .LBB18_8
; %bb.10:                               ;   in Loop: Header=BB18_9 Depth=2
	v_add_nc_u32_e32 v10, 1, v12
	s_andn2_b32 s11, s11, exec_lo
	s_andn2_b32 s10, s10, exec_lo
	v_and_b32_e32 v10, 0x1ff, v10
	v_lshl_add_u32 v11, v10, 2, v21
	ds_read_b32 v13, v11
	s_waitcnt lgkmcnt(0)
	v_cmp_eq_u32_e32 vcc_lo, v13, v7
	s_and_b32 s25, vcc_lo, exec_lo
	s_or_b32 s11, s11, s25
	s_branch .LBB18_8
.LBB18_11:                              ;   in Loop: Header=BB18_6 Depth=1
	s_inst_prefetch 0x2
	s_or_b32 exec_lo, exec_lo, s6
	s_and_saveexec_b32 s6, s7
	s_xor_b32 s6, exec_lo, s6
	s_cbranch_execz .LBB18_5
; %bb.12:                               ;   in Loop: Header=BB18_6 Depth=1
	v_lshl_add_u32 v7, v12, 2, v0
	ds_write_b32 v7, v6
	s_branch .LBB18_5
.LBB18_13:
	s_or_b32 exec_lo, exec_lo, s0
	v_mov_b32_e32 v7, 0
	v_mov_b32_e32 v8, 0
	s_mov_b32 s3, exec_lo
	s_waitcnt vmcnt(0) lgkmcnt(0)
	buffer_gl0_inv
	v_cmpx_lt_i32_e64 v5, v4
	s_cbranch_execz .LBB18_35
; %bb.14:
	v_mbcnt_lo_u32_b32 v22, -1, 0
	v_mov_b32_e32 v7, 0
	v_add_nc_u32_e32 v23, -1, v4
	v_subrev_nc_u32_e32 v24, s2, v20
	v_cmp_eq_u32_e64 s0, 31, v20
	v_mov_b32_e32 v8, 0
	v_xor_b32_e32 v25, 16, v22
	v_xor_b32_e32 v26, 8, v22
	v_xor_b32_e32 v27, 4, v22
	v_xor_b32_e32 v28, 2, v22
	v_xor_b32_e32 v29, 1, v22
	s_mov_b32 s6, 0
	s_branch .LBB18_17
.LBB18_15:                              ;   in Loop: Header=BB18_17 Depth=1
	s_or_b32 exec_lo, exec_lo, s10
.LBB18_16:                              ;   in Loop: Header=BB18_17 Depth=1
	s_or_b32 exec_lo, exec_lo, s7
	v_add_nc_u32_e32 v5, 1, v5
	s_xor_b32 s1, s1, -1
	v_cmp_ge_i32_e32 vcc_lo, v5, v4
	s_or_b32 s1, s1, vcc_lo
	s_and_b32 s1, exec_lo, s1
	s_or_b32 s6, s1, s6
	s_andn2_b32 exec_lo, exec_lo, s6
	s_cbranch_execz .LBB18_34
.LBB18_17:                              ; =>This Loop Header: Depth=1
                                        ;     Child Loop BB18_18 Depth 2
                                        ;     Child Loop BB18_24 Depth 2
                                        ;       Child Loop BB18_27 Depth 3
	v_ashrrev_i32_e32 v6, 31, v5
	s_mov_b32 s1, 0
	v_lshlrev_b64 v[9:10], 2, v[5:6]
	v_lshlrev_b64 v[11:12], 3, v[5:6]
	v_add_co_u32 v9, vcc_lo, s18, v9
	v_add_co_ci_u32_e64 v10, null, s19, v10, vcc_lo
	global_load_dword v9, v[9:10], off
	s_waitcnt vmcnt(0)
	v_subrev_nc_u32_e32 v9, s2, v9
	v_ashrrev_i32_e32 v10, 31, v9
	v_lshlrev_b64 v[13:14], 2, v[9:10]
	v_add_co_u32 v9, vcc_lo, s20, v11
	v_add_co_ci_u32_e64 v10, null, s21, v12, vcc_lo
	v_add_co_u32 v15, vcc_lo, s16, v13
	v_add_co_ci_u32_e64 v16, null, s17, v14, vcc_lo
	s_waitcnt lgkmcnt(1)
	v_add_co_u32 v17, vcc_lo, s22, v13
	s_waitcnt lgkmcnt(0)
	v_add_co_ci_u32_e64 v18, null, s23, v14, vcc_lo
	global_load_dwordx2 v[11:12], v[9:10], off
	global_load_dword v6, v[15:16], off
	global_load_dword v15, v[17:18], off
	v_add_co_u32 v13, vcc_lo, s8, v13
	v_add_co_ci_u32_e64 v14, null, s9, v14, vcc_lo
.LBB18_18:                              ;   Parent Loop BB18_17 Depth=1
                                        ; =>  This Inner Loop Header: Depth=2
	global_load_dword v16, v[13:14], off glc dlc
	s_waitcnt vmcnt(0)
	v_cmp_ne_u32_e32 vcc_lo, 0, v16
	s_or_b32 s1, vcc_lo, s1
	s_andn2_b32 exec_lo, exec_lo, s1
	s_cbranch_execnz .LBB18_18
; %bb.19:                               ;   in Loop: Header=BB18_17 Depth=1
	s_or_b32 exec_lo, exec_lo, s1
	v_cmp_eq_u32_e32 vcc_lo, -1, v15
	buffer_gl1_inv
	buffer_gl0_inv
	v_cndmask_b32_e32 v15, v15, v23, vcc_lo
	v_ashrrev_i32_e32 v16, 31, v15
	v_lshlrev_b64 v[13:14], 3, v[15:16]
	v_add_co_u32 v13, vcc_lo, s20, v13
	v_add_co_ci_u32_e64 v14, null, s21, v14, vcc_lo
	global_load_dwordx2 v[13:14], v[13:14], off
	s_waitcnt vmcnt(0)
	v_cmp_neq_f64_e64 s1, 0, v[13:14]
	s_and_saveexec_b32 s7, s1
	s_cbranch_execz .LBB18_16
; %bb.20:                               ;   in Loop: Header=BB18_17 Depth=1
	v_mov_b32_e32 v16, 0
	v_add_nc_u32_e32 v18, v24, v6
	v_mov_b32_e32 v17, 0
	s_mov_b32 s10, exec_lo
	v_cmpx_lt_i32_e64 v18, v15
	s_cbranch_execz .LBB18_32
; %bb.21:                               ;   in Loop: Header=BB18_17 Depth=1
	v_mov_b32_e32 v16, 0
	v_mov_b32_e32 v17, 0
	s_mov_b32 s11, 0
	s_branch .LBB18_24
.LBB18_22:                              ;   in Loop: Header=BB18_24 Depth=2
	s_or_b32 exec_lo, exec_lo, s25
.LBB18_23:                              ;   in Loop: Header=BB18_24 Depth=2
	s_or_b32 exec_lo, exec_lo, s24
	v_add_nc_u32_e32 v18, 32, v18
	v_cmp_ge_i32_e32 vcc_lo, v18, v15
	s_or_b32 s11, vcc_lo, s11
	s_andn2_b32 exec_lo, exec_lo, s11
	s_cbranch_execz .LBB18_31
.LBB18_24:                              ;   Parent Loop BB18_17 Depth=1
                                        ; =>  This Loop Header: Depth=2
                                        ;       Child Loop BB18_27 Depth 3
	v_ashrrev_i32_e32 v19, 31, v18
	s_mov_b32 s24, exec_lo
	v_lshlrev_b64 v[30:31], 2, v[18:19]
	v_add_co_u32 v30, vcc_lo, s18, v30
	v_add_co_ci_u32_e64 v31, null, s19, v31, vcc_lo
	global_load_dword v6, v[30:31], off
	s_waitcnt vmcnt(0)
	v_mul_lo_u32 v30, 0x67, v6
	v_and_b32_e32 v32, 0x1ff, v30
	v_lshl_add_u32 v30, v32, 2, v21
	ds_read_b32 v31, v30
	s_waitcnt lgkmcnt(0)
	v_cmpx_ne_u32_e32 -1, v31
	s_cbranch_execz .LBB18_23
; %bb.25:                               ;   in Loop: Header=BB18_24 Depth=2
	s_mov_b32 s25, 0
                                        ; implicit-def: $sgpr26
                                        ; implicit-def: $sgpr28
                                        ; implicit-def: $sgpr27
	s_inst_prefetch 0x1
	s_branch .LBB18_27
	.p2align	6
.LBB18_26:                              ;   in Loop: Header=BB18_27 Depth=3
	s_or_b32 exec_lo, exec_lo, s29
	s_and_b32 s29, exec_lo, s28
	s_or_b32 s25, s29, s25
	s_andn2_b32 s26, s26, exec_lo
	s_and_b32 s29, s27, exec_lo
	s_or_b32 s26, s26, s29
	s_andn2_b32 exec_lo, exec_lo, s25
	s_cbranch_execz .LBB18_29
.LBB18_27:                              ;   Parent Loop BB18_17 Depth=1
                                        ;     Parent Loop BB18_24 Depth=2
                                        ; =>    This Inner Loop Header: Depth=3
	v_mov_b32_e32 v30, v32
	v_cmp_ne_u32_e32 vcc_lo, v31, v6
	s_or_b32 s27, s27, exec_lo
	s_or_b32 s28, s28, exec_lo
                                        ; implicit-def: $vgpr32
                                        ; implicit-def: $vgpr31
	s_and_saveexec_b32 s29, vcc_lo
	s_cbranch_execz .LBB18_26
; %bb.28:                               ;   in Loop: Header=BB18_27 Depth=3
	v_add_nc_u32_e32 v31, 1, v30
	s_andn2_b32 s28, s28, exec_lo
	s_andn2_b32 s27, s27, exec_lo
	v_and_b32_e32 v32, 0x1ff, v31
	v_lshl_add_u32 v31, v32, 2, v21
	ds_read_b32 v31, v31
	s_waitcnt lgkmcnt(0)
	v_cmp_eq_u32_e32 vcc_lo, -1, v31
	s_and_b32 s30, vcc_lo, exec_lo
	s_or_b32 s28, s28, s30
	s_branch .LBB18_26
.LBB18_29:                              ;   in Loop: Header=BB18_24 Depth=2
	s_inst_prefetch 0x2
	s_or_b32 exec_lo, exec_lo, s25
	s_and_saveexec_b32 s25, s26
	s_xor_b32 s25, exec_lo, s25
	s_cbranch_execz .LBB18_22
; %bb.30:                               ;   in Loop: Header=BB18_24 Depth=2
	v_lshl_add_u32 v6, v30, 2, v0
	v_lshlrev_b64 v[32:33], 3, v[18:19]
	ds_read_b32 v30, v6
	v_add_co_u32 v32, vcc_lo, s20, v32
	v_add_co_ci_u32_e64 v33, null, s21, v33, vcc_lo
	s_waitcnt lgkmcnt(0)
	v_ashrrev_i32_e32 v31, 31, v30
	v_lshlrev_b64 v[30:31], 3, v[30:31]
	v_add_co_u32 v30, vcc_lo, s20, v30
	v_add_co_ci_u32_e64 v31, null, s21, v31, vcc_lo
	s_clause 0x1
	global_load_dwordx2 v[32:33], v[32:33], off
	global_load_dwordx2 v[30:31], v[30:31], off
	s_waitcnt vmcnt(0)
	v_fma_f64 v[16:17], v[32:33], v[30:31], v[16:17]
	s_branch .LBB18_22
.LBB18_31:                              ;   in Loop: Header=BB18_17 Depth=1
	s_or_b32 exec_lo, exec_lo, s11
.LBB18_32:                              ;   in Loop: Header=BB18_17 Depth=1
	s_or_b32 exec_lo, exec_lo, s10
	v_cmp_gt_i32_e32 vcc_lo, 32, v25
	v_cndmask_b32_e32 v6, v22, v25, vcc_lo
	v_cmp_gt_i32_e32 vcc_lo, 32, v26
	v_lshlrev_b32_e32 v6, 2, v6
	ds_bpermute_b32 v18, v6, v16
	ds_bpermute_b32 v19, v6, v17
	v_cndmask_b32_e32 v6, v22, v26, vcc_lo
	v_cmp_gt_i32_e32 vcc_lo, 32, v27
	v_lshlrev_b32_e32 v6, 2, v6
	s_waitcnt lgkmcnt(0)
	v_add_f64 v[15:16], v[16:17], v[18:19]
	ds_bpermute_b32 v17, v6, v15
	ds_bpermute_b32 v18, v6, v16
	v_cndmask_b32_e32 v6, v22, v27, vcc_lo
	v_cmp_gt_i32_e32 vcc_lo, 32, v28
	v_lshlrev_b32_e32 v6, 2, v6
	s_waitcnt lgkmcnt(0)
	v_add_f64 v[15:16], v[15:16], v[17:18]
	;; [unrolled: 7-line block ×3, first 2 shown]
	ds_bpermute_b32 v17, v6, v15
	ds_bpermute_b32 v18, v6, v16
	v_cndmask_b32_e32 v6, v22, v29, vcc_lo
	v_lshlrev_b32_e32 v6, 2, v6
	s_waitcnt lgkmcnt(0)
	v_add_f64 v[15:16], v[15:16], v[17:18]
	ds_bpermute_b32 v17, v6, v15
	ds_bpermute_b32 v18, v6, v16
	s_and_saveexec_b32 s10, s0
	s_cbranch_execz .LBB18_15
; %bb.33:                               ;   in Loop: Header=BB18_17 Depth=1
	v_div_scale_f64 v[30:31], null, v[13:14], v[13:14], 1.0
	v_div_scale_f64 v[36:37], vcc_lo, 1.0, v[13:14], 1.0
	s_waitcnt lgkmcnt(0)
	v_add_f64 v[15:16], v[15:16], v[17:18]
	v_rcp_f64_e32 v[32:33], v[30:31]
	v_add_f64 v[11:12], v[11:12], -v[15:16]
	v_fma_f64 v[34:35], -v[30:31], v[32:33], 1.0
	v_fma_f64 v[32:33], v[32:33], v[34:35], v[32:33]
	v_fma_f64 v[34:35], -v[30:31], v[32:33], 1.0
	v_fma_f64 v[32:33], v[32:33], v[34:35], v[32:33]
	v_mul_f64 v[34:35], v[36:37], v[32:33]
	v_fma_f64 v[30:31], -v[30:31], v[34:35], v[36:37]
	v_div_fmas_f64 v[30:31], v[30:31], v[32:33], v[34:35]
	v_div_fixup_f64 v[13:14], v[30:31], v[13:14], 1.0
	v_mul_f64 v[11:12], v[13:14], v[11:12]
	v_fma_f64 v[7:8], v[11:12], v[11:12], v[7:8]
	global_store_dwordx2 v[9:10], v[11:12], off
	s_branch .LBB18_15
.LBB18_34:
	s_or_b32 exec_lo, exec_lo, s6
.LBB18_35:
	s_or_b32 exec_lo, exec_lo, s3
	v_cmp_eq_u32_e32 vcc_lo, 31, v20
	v_cmp_lt_i32_e64 s0, -1, v4
	s_and_b32 s0, vcc_lo, s0
	s_and_saveexec_b32 s3, s0
	s_cbranch_execz .LBB18_46
; %bb.36:
	v_mov_b32_e32 v5, 0
	v_add_nc_u32_e32 v0, s2, v3
	v_lshlrev_b64 v[4:5], 3, v[4:5]
	v_add_co_u32 v4, s0, s20, v4
	v_add_co_ci_u32_e64 v5, null, s21, v5, s0
	s_load_dwordx2 s[0:1], s[4:5], 0x48
	global_load_dwordx2 v[9:10], v[4:5], off
	s_waitcnt lgkmcnt(0)
	v_mul_f64 v[11:12], s[0:1], s[0:1]
	s_mov_b32 s1, exec_lo
	s_waitcnt vmcnt(0)
	v_add_f64 v[6:7], v[9:10], -v[7:8]
	v_cmpx_le_f64_e32 v[6:7], v[11:12]
	s_cbranch_execz .LBB18_41
; %bb.37:
	s_mov_b32 s0, exec_lo
	s_brev_b32 s2, -2
.LBB18_38:                              ; =>This Inner Loop Header: Depth=1
	s_ff1_i32_b32 s4, s0
	v_readlane_b32 s5, v0, s4
	s_lshl_b32 s4, 1, s4
	s_andn2_b32 s0, s0, s4
	s_min_i32 s2, s2, s5
	s_cmp_lg_u32 s0, 0
	s_cbranch_scc1 .LBB18_38
; %bb.39:
	v_mbcnt_lo_u32_b32 v3, exec_lo, 0
	s_mov_b32 s4, exec_lo
	v_cmpx_eq_u32_e32 0, v3
	s_xor_b32 s4, exec_lo, s4
	s_cbranch_execz .LBB18_41
; %bb.40:
	v_mov_b32_e32 v3, 0
	v_mov_b32_e32 v8, s2
	global_atomic_smin v3, v8, s[14:15]
.LBB18_41:
	s_or_b32 exec_lo, exec_lo, s1
	v_cmp_gt_f64_e64 s0, 0, v[6:7]
	v_xor_b32_e32 v3, 0x80000000, v7
	v_mov_b32_e32 v8, v6
	v_cmp_eq_f64_e64 s1, 0, v[6:7]
	v_cndmask_b32_e64 v9, v7, v3, s0
	v_cmp_gt_f64_e64 s0, 0x10000000, v[8:9]
	v_cndmask_b32_e64 v3, 0, 0x100, s0
	v_ldexp_f64 v[8:9], v[8:9], v3
	v_cndmask_b32_e64 v3, 0, 0xffffff80, s0
	v_rsq_f64_e32 v[10:11], v[8:9]
	v_cmp_class_f64_e64 s0, v[8:9], 0x260
	v_mul_f64 v[12:13], v[8:9], v[10:11]
	v_mul_f64 v[10:11], v[10:11], 0.5
	v_fma_f64 v[14:15], -v[10:11], v[12:13], 0.5
	v_fma_f64 v[12:13], v[12:13], v[14:15], v[12:13]
	v_fma_f64 v[10:11], v[10:11], v[14:15], v[10:11]
	v_fma_f64 v[14:15], -v[12:13], v[12:13], v[8:9]
	v_fma_f64 v[12:13], v[14:15], v[10:11], v[12:13]
	v_fma_f64 v[14:15], -v[12:13], v[12:13], v[8:9]
	v_fma_f64 v[10:11], v[14:15], v[10:11], v[12:13]
	v_ldexp_f64 v[10:11], v[10:11], v3
	v_cndmask_b32_e64 v7, v11, v9, s0
	v_cndmask_b32_e64 v6, v10, v8, s0
	global_store_dwordx2 v[4:5], v[6:7], off
	s_and_b32 exec_lo, exec_lo, s1
	s_cbranch_execz .LBB18_46
; %bb.42:
	s_mov_b32 s0, exec_lo
	s_brev_b32 s1, -2
.LBB18_43:                              ; =>This Inner Loop Header: Depth=1
	s_ff1_i32_b32 s2, s0
	v_readlane_b32 s4, v0, s2
	s_lshl_b32 s2, 1, s2
	s_andn2_b32 s0, s0, s2
	s_min_i32 s1, s1, s4
	s_cmp_lg_u32 s0, 0
	s_cbranch_scc1 .LBB18_43
; %bb.44:
	v_mbcnt_lo_u32_b32 v0, exec_lo, 0
	s_mov_b32 s2, exec_lo
	v_cmpx_eq_u32_e32 0, v0
	s_xor_b32 s2, exec_lo, s2
	s_cbranch_execz .LBB18_46
; %bb.45:
	v_mov_b32_e32 v0, 0
	v_mov_b32_e32 v3, s1
	global_atomic_smin v0, v3, s[12:13]
.LBB18_46:
	s_or_b32 exec_lo, exec_lo, s3
	s_and_b32 exec_lo, exec_lo, vcc_lo
	s_cbranch_execz .LBB18_48
; %bb.47:
	v_add_co_u32 v0, vcc_lo, s8, v1
	v_add_co_ci_u32_e64 v1, null, s9, v2, vcc_lo
	v_mov_b32_e32 v2, 1
	s_waitcnt lgkmcnt(0)
	s_waitcnt_vscnt null, 0x0
	global_store_dword v[0:1], v2, off
.LBB18_48:
	s_endpgm
	.section	.rodata,"a",@progbits
	.p2align	6, 0x0
	.amdhsa_kernel _ZN9rocsparseL18csric0_hash_kernelILj256ELj32ELj16EdEEviPKiS2_PT2_S2_PiS2_S5_S5_d21rocsparse_index_base_
		.amdhsa_group_segment_fixed_size 32768
		.amdhsa_private_segment_fixed_size 0
		.amdhsa_kernarg_size 84
		.amdhsa_user_sgpr_count 6
		.amdhsa_user_sgpr_private_segment_buffer 1
		.amdhsa_user_sgpr_dispatch_ptr 0
		.amdhsa_user_sgpr_queue_ptr 0
		.amdhsa_user_sgpr_kernarg_segment_ptr 1
		.amdhsa_user_sgpr_dispatch_id 0
		.amdhsa_user_sgpr_flat_scratch_init 0
		.amdhsa_user_sgpr_private_segment_size 0
		.amdhsa_wavefront_size32 1
		.amdhsa_uses_dynamic_stack 0
		.amdhsa_system_sgpr_private_segment_wavefront_offset 0
		.amdhsa_system_sgpr_workgroup_id_x 1
		.amdhsa_system_sgpr_workgroup_id_y 0
		.amdhsa_system_sgpr_workgroup_id_z 0
		.amdhsa_system_sgpr_workgroup_info 0
		.amdhsa_system_vgpr_workitem_id 0
		.amdhsa_next_free_vgpr 113
		.amdhsa_next_free_sgpr 31
		.amdhsa_reserve_vcc 1
		.amdhsa_reserve_flat_scratch 0
		.amdhsa_float_round_mode_32 0
		.amdhsa_float_round_mode_16_64 0
		.amdhsa_float_denorm_mode_32 3
		.amdhsa_float_denorm_mode_16_64 3
		.amdhsa_dx10_clamp 1
		.amdhsa_ieee_mode 1
		.amdhsa_fp16_overflow 0
		.amdhsa_workgroup_processor_mode 1
		.amdhsa_memory_ordered 1
		.amdhsa_forward_progress 1
		.amdhsa_shared_vgpr_count 0
		.amdhsa_exception_fp_ieee_invalid_op 0
		.amdhsa_exception_fp_denorm_src 0
		.amdhsa_exception_fp_ieee_div_zero 0
		.amdhsa_exception_fp_ieee_overflow 0
		.amdhsa_exception_fp_ieee_underflow 0
		.amdhsa_exception_fp_ieee_inexact 0
		.amdhsa_exception_int_div_zero 0
	.end_amdhsa_kernel
	.section	.text._ZN9rocsparseL18csric0_hash_kernelILj256ELj32ELj16EdEEviPKiS2_PT2_S2_PiS2_S5_S5_d21rocsparse_index_base_,"axG",@progbits,_ZN9rocsparseL18csric0_hash_kernelILj256ELj32ELj16EdEEviPKiS2_PT2_S2_PiS2_S5_S5_d21rocsparse_index_base_,comdat
.Lfunc_end18:
	.size	_ZN9rocsparseL18csric0_hash_kernelILj256ELj32ELj16EdEEviPKiS2_PT2_S2_PiS2_S5_S5_d21rocsparse_index_base_, .Lfunc_end18-_ZN9rocsparseL18csric0_hash_kernelILj256ELj32ELj16EdEEviPKiS2_PT2_S2_PiS2_S5_S5_d21rocsparse_index_base_
                                        ; -- End function
	.set _ZN9rocsparseL18csric0_hash_kernelILj256ELj32ELj16EdEEviPKiS2_PT2_S2_PiS2_S5_S5_d21rocsparse_index_base_.num_vgpr, 38
	.set _ZN9rocsparseL18csric0_hash_kernelILj256ELj32ELj16EdEEviPKiS2_PT2_S2_PiS2_S5_S5_d21rocsparse_index_base_.num_agpr, 0
	.set _ZN9rocsparseL18csric0_hash_kernelILj256ELj32ELj16EdEEviPKiS2_PT2_S2_PiS2_S5_S5_d21rocsparse_index_base_.numbered_sgpr, 31
	.set _ZN9rocsparseL18csric0_hash_kernelILj256ELj32ELj16EdEEviPKiS2_PT2_S2_PiS2_S5_S5_d21rocsparse_index_base_.num_named_barrier, 0
	.set _ZN9rocsparseL18csric0_hash_kernelILj256ELj32ELj16EdEEviPKiS2_PT2_S2_PiS2_S5_S5_d21rocsparse_index_base_.private_seg_size, 0
	.set _ZN9rocsparseL18csric0_hash_kernelILj256ELj32ELj16EdEEviPKiS2_PT2_S2_PiS2_S5_S5_d21rocsparse_index_base_.uses_vcc, 1
	.set _ZN9rocsparseL18csric0_hash_kernelILj256ELj32ELj16EdEEviPKiS2_PT2_S2_PiS2_S5_S5_d21rocsparse_index_base_.uses_flat_scratch, 0
	.set _ZN9rocsparseL18csric0_hash_kernelILj256ELj32ELj16EdEEviPKiS2_PT2_S2_PiS2_S5_S5_d21rocsparse_index_base_.has_dyn_sized_stack, 0
	.set _ZN9rocsparseL18csric0_hash_kernelILj256ELj32ELj16EdEEviPKiS2_PT2_S2_PiS2_S5_S5_d21rocsparse_index_base_.has_recursion, 0
	.set _ZN9rocsparseL18csric0_hash_kernelILj256ELj32ELj16EdEEviPKiS2_PT2_S2_PiS2_S5_S5_d21rocsparse_index_base_.has_indirect_call, 0
	.section	.AMDGPU.csdata,"",@progbits
; Kernel info:
; codeLenInByte = 2332
; TotalNumSgprs: 33
; NumVgprs: 38
; ScratchSize: 0
; MemoryBound: 0
; FloatMode: 240
; IeeeMode: 1
; LDSByteSize: 32768 bytes/workgroup (compile time only)
; SGPRBlocks: 0
; VGPRBlocks: 14
; NumSGPRsForWavesPerEU: 33
; NumVGPRsForWavesPerEU: 113
; Occupancy: 8
; WaveLimiterHint : 1
; COMPUTE_PGM_RSRC2:SCRATCH_EN: 0
; COMPUTE_PGM_RSRC2:USER_SGPR: 6
; COMPUTE_PGM_RSRC2:TRAP_HANDLER: 0
; COMPUTE_PGM_RSRC2:TGID_X_EN: 1
; COMPUTE_PGM_RSRC2:TGID_Y_EN: 0
; COMPUTE_PGM_RSRC2:TGID_Z_EN: 0
; COMPUTE_PGM_RSRC2:TIDIG_COMP_CNT: 0
	.section	.text._ZN9rocsparseL23csric0_binsearch_kernelILj256ELj32ELb0EdEEviPKiS2_PT2_S2_PiS2_S5_S5_d21rocsparse_index_base_,"axG",@progbits,_ZN9rocsparseL23csric0_binsearch_kernelILj256ELj32ELb0EdEEviPKiS2_PT2_S2_PiS2_S5_S5_d21rocsparse_index_base_,comdat
	.globl	_ZN9rocsparseL23csric0_binsearch_kernelILj256ELj32ELb0EdEEviPKiS2_PT2_S2_PiS2_S5_S5_d21rocsparse_index_base_ ; -- Begin function _ZN9rocsparseL23csric0_binsearch_kernelILj256ELj32ELb0EdEEviPKiS2_PT2_S2_PiS2_S5_S5_d21rocsparse_index_base_
	.p2align	8
	.type	_ZN9rocsparseL23csric0_binsearch_kernelILj256ELj32ELb0EdEEviPKiS2_PT2_S2_PiS2_S5_S5_d21rocsparse_index_base_,@function
_ZN9rocsparseL23csric0_binsearch_kernelILj256ELj32ELb0EdEEviPKiS2_PT2_S2_PiS2_S5_S5_d21rocsparse_index_base_: ; @_ZN9rocsparseL23csric0_binsearch_kernelILj256ELj32ELb0EdEEviPKiS2_PT2_S2_PiS2_S5_S5_d21rocsparse_index_base_
; %bb.0:
	s_load_dword s0, s[4:5], 0x0
	v_lshrrev_b32_e32 v1, 5, v0
	s_lshl_b32 s1, s6, 3
	v_and_or_b32 v1, 0x7fffff8, s1, v1
	s_waitcnt lgkmcnt(0)
	v_cmp_gt_i32_e32 vcc_lo, s0, v1
	s_and_saveexec_b32 s0, vcc_lo
	s_cbranch_execz .LBB19_47
; %bb.1:
	s_load_dwordx8 s[8:15], s[4:5], 0x18
	v_lshlrev_b32_e32 v1, 2, v1
	v_and_b32_e32 v0, 31, v0
	s_mov_b32 s20, exec_lo
	s_waitcnt lgkmcnt(0)
	global_load_dword v3, v1, s[14:15]
	s_load_dwordx2 s[14:15], s[4:5], 0x8
	s_waitcnt vmcnt(0)
	v_ashrrev_i32_e32 v4, 31, v3
	v_lshlrev_b64 v[1:2], 2, v[3:4]
	s_waitcnt lgkmcnt(0)
	v_add_co_u32 v8, vcc_lo, s14, v1
	v_add_co_ci_u32_e64 v9, null, s15, v2, vcc_lo
	v_add_co_u32 v4, vcc_lo, s10, v1
	v_add_co_ci_u32_e64 v5, null, s11, v2, vcc_lo
	global_load_dword v6, v[8:9], off
	global_load_dword v4, v[4:5], off
	s_clause 0x2
	s_load_dword s3, s[4:5], 0x50
	s_load_dwordx4 s[16:19], s[4:5], 0x38
	s_load_dwordx2 s[6:7], s[4:5], 0x48
	s_waitcnt vmcnt(1) lgkmcnt(0)
	v_subrev_nc_u32_e32 v5, s3, v6
	v_mov_b32_e32 v6, 0
	v_mov_b32_e32 v7, 0
	s_waitcnt vmcnt(0)
	v_cmpx_lt_i32_e64 v5, v4
	s_cbranch_execz .LBB19_34
; %bb.2:
	global_load_dword v8, v[8:9], off offset:4
	s_load_dwordx2 s[4:5], s[4:5], 0x10
	v_mov_b32_e32 v6, 0
	v_add_nc_u32_e32 v22, -1, v4
	v_cmp_eq_u32_e64 s0, 0, v0
	v_subrev_nc_u32_e32 v23, s3, v0
	v_cmp_eq_u32_e64 s1, 31, v0
	v_mov_b32_e32 v7, 0
	v_mov_b32_e32 v24, 0
	v_mbcnt_lo_u32_b32 v25, -1, 0
	s_mov_b32 s21, 0
	s_waitcnt vmcnt(0)
	v_xad_u32 v26, s3, -1, v8
	v_mov_b32_e32 v8, v5
	s_branch .LBB19_5
.LBB19_3:                               ;   in Loop: Header=BB19_5 Depth=1
	s_or_b32 exec_lo, exec_lo, s23
.LBB19_4:                               ;   in Loop: Header=BB19_5 Depth=1
	s_or_b32 exec_lo, exec_lo, s22
	v_add_nc_u32_e32 v8, 1, v8
	s_xor_b32 s2, s2, -1
	v_cmp_ge_i32_e32 vcc_lo, v8, v4
	s_or_b32 s2, s2, vcc_lo
	s_and_b32 s2, exec_lo, s2
	s_or_b32 s21, s2, s21
	s_andn2_b32 exec_lo, exec_lo, s21
	s_cbranch_execz .LBB19_33
.LBB19_5:                               ; =>This Loop Header: Depth=1
                                        ;     Child Loop BB19_7 Depth 2
                                        ;     Child Loop BB19_11 Depth 2
	;; [unrolled: 1-line block ×4, first 2 shown]
                                        ;       Child Loop BB19_26 Depth 3
	v_ashrrev_i32_e32 v9, 31, v8
	s_mov_b32 s2, exec_lo
	v_lshlrev_b64 v[10:11], 2, v[8:9]
	v_lshlrev_b64 v[12:13], 3, v[8:9]
	s_waitcnt lgkmcnt(0)
	v_add_co_u32 v10, vcc_lo, s4, v10
	v_add_co_ci_u32_e64 v11, null, s5, v11, vcc_lo
	v_add_co_u32 v9, vcc_lo, s8, v12
	global_load_dword v17, v[10:11], off
	s_waitcnt vmcnt(0)
	v_subrev_nc_u32_e32 v10, s3, v17
	v_ashrrev_i32_e32 v11, 31, v10
	v_lshlrev_b64 v[14:15], 2, v[10:11]
	v_add_co_ci_u32_e64 v10, null, s9, v13, vcc_lo
	v_add_co_u32 v18, vcc_lo, s14, v14
	v_add_co_ci_u32_e64 v19, null, s15, v15, vcc_lo
	v_add_co_u32 v20, vcc_lo, s10, v14
	;; [unrolled: 2-line block ×3, first 2 shown]
	v_add_co_ci_u32_e64 v14, null, s13, v15, vcc_lo
	global_load_dwordx2 v[11:12], v[9:10], off
	global_load_dword v18, v[18:19], off
	global_load_dword v15, v[20:21], off
	global_load_dword v16, v[13:14], off glc dlc
	s_waitcnt vmcnt(0)
	v_cmpx_eq_u32_e32 0, v16
	s_cbranch_execz .LBB19_8
; %bb.6:                                ;   in Loop: Header=BB19_5 Depth=1
	s_mov_b32 s22, 0
.LBB19_7:                               ;   Parent Loop BB19_5 Depth=1
                                        ; =>  This Inner Loop Header: Depth=2
	global_load_dword v16, v[13:14], off glc dlc
	s_waitcnt vmcnt(0)
	v_cmp_ne_u32_e32 vcc_lo, 0, v16
	s_or_b32 s22, vcc_lo, s22
	s_andn2_b32 exec_lo, exec_lo, s22
	s_cbranch_execnz .LBB19_7
.LBB19_8:                               ;   in Loop: Header=BB19_5 Depth=1
	s_or_b32 exec_lo, exec_lo, s2
	v_cmp_eq_u32_e32 vcc_lo, -1, v15
	buffer_gl1_inv
	buffer_gl0_inv
	s_mov_b32 s22, exec_lo
	v_cndmask_b32_e32 v15, v15, v22, vcc_lo
	v_ashrrev_i32_e32 v16, 31, v15
	v_lshlrev_b64 v[13:14], 3, v[15:16]
	v_add_co_u32 v13, vcc_lo, s8, v13
	v_add_co_ci_u32_e64 v14, null, s9, v14, vcc_lo
	global_load_dwordx2 v[13:14], v[13:14], off
	s_waitcnt vmcnt(0)
	v_cmp_neq_f64_e64 s2, 0, v[13:14]
	v_cmpx_eq_f64_e32 0, v[13:14]
	s_xor_b32 s22, exec_lo, s22
	s_cbranch_execz .LBB19_15
; %bb.9:                                ;   in Loop: Header=BB19_5 Depth=1
	s_and_saveexec_b32 s23, s0
	s_cbranch_execz .LBB19_14
; %bb.10:                               ;   in Loop: Header=BB19_5 Depth=1
	s_mov_b32 s25, exec_lo
	s_brev_b32 s24, -2
.LBB19_11:                              ;   Parent Loop BB19_5 Depth=1
                                        ; =>  This Inner Loop Header: Depth=2
	s_ff1_i32_b32 s26, s25
	v_readlane_b32 s27, v17, s26
	s_lshl_b32 s26, 1, s26
	s_andn2_b32 s25, s25, s26
	s_min_i32 s24, s24, s27
	s_cmp_lg_u32 s25, 0
	s_cbranch_scc1 .LBB19_11
; %bb.12:                               ;   in Loop: Header=BB19_5 Depth=1
	v_mbcnt_lo_u32_b32 v9, exec_lo, 0
	s_mov_b32 s25, exec_lo
	v_cmpx_eq_u32_e32 0, v9
	s_xor_b32 s25, exec_lo, s25
	s_cbranch_execz .LBB19_14
; %bb.13:                               ;   in Loop: Header=BB19_5 Depth=1
	v_mov_b32_e32 v9, s24
	global_atomic_smin v24, v9, s[16:17]
.LBB19_14:                              ;   in Loop: Header=BB19_5 Depth=1
	s_or_b32 exec_lo, exec_lo, s23
                                        ; implicit-def: $vgpr13_vgpr14
                                        ; implicit-def: $vgpr11_vgpr12
                                        ; implicit-def: $vgpr9_vgpr10
                                        ; implicit-def: $vgpr18
                                        ; implicit-def: $vgpr15
                                        ; implicit-def: $vgpr17
.LBB19_15:                              ;   in Loop: Header=BB19_5 Depth=1
	s_andn2_saveexec_b32 s22, s22
	s_cbranch_execz .LBB19_4
; %bb.16:                               ;   in Loop: Header=BB19_5 Depth=1
	v_cmp_ge_f64_e32 vcc_lo, s[6:7], v[13:14]
	s_and_b32 s24, s0, vcc_lo
	s_and_saveexec_b32 s23, s24
	s_cbranch_execz .LBB19_21
; %bb.17:                               ;   in Loop: Header=BB19_5 Depth=1
	s_mov_b32 s25, exec_lo
	s_brev_b32 s24, -2
.LBB19_18:                              ;   Parent Loop BB19_5 Depth=1
                                        ; =>  This Inner Loop Header: Depth=2
	s_ff1_i32_b32 s26, s25
	v_readlane_b32 s27, v17, s26
	s_lshl_b32 s26, 1, s26
	s_andn2_b32 s25, s25, s26
	s_min_i32 s24, s24, s27
	s_cmp_lg_u32 s25, 0
	s_cbranch_scc1 .LBB19_18
; %bb.19:                               ;   in Loop: Header=BB19_5 Depth=1
	v_mbcnt_lo_u32_b32 v16, exec_lo, 0
	s_mov_b32 s25, exec_lo
	v_cmpx_eq_u32_e32 0, v16
	s_xor_b32 s25, exec_lo, s25
	s_cbranch_execz .LBB19_21
; %bb.20:                               ;   in Loop: Header=BB19_5 Depth=1
	v_mov_b32_e32 v16, s24
	global_atomic_smin v24, v16, s[18:19]
.LBB19_21:                              ;   in Loop: Header=BB19_5 Depth=1
	s_or_b32 exec_lo, exec_lo, s23
	v_mov_b32_e32 v16, 0
	v_add_nc_u32_e32 v18, v23, v18
	v_mov_b32_e32 v17, 0
	s_mov_b32 s23, exec_lo
	v_cmpx_lt_i32_e64 v18, v15
	s_cbranch_execz .LBB19_31
; %bb.22:                               ;   in Loop: Header=BB19_5 Depth=1
	v_mov_b32_e32 v16, 0
	v_mov_b32_e32 v17, 0
	;; [unrolled: 1-line block ×3, first 2 shown]
	s_mov_b32 s24, 0
	s_branch .LBB19_24
.LBB19_23:                              ;   in Loop: Header=BB19_24 Depth=2
	s_or_b32 exec_lo, exec_lo, s25
	v_add_nc_u32_e32 v18, 32, v18
	v_cmp_ge_i32_e32 vcc_lo, v18, v15
	s_or_b32 s24, vcc_lo, s24
	s_andn2_b32 exec_lo, exec_lo, s24
	s_cbranch_execz .LBB19_30
.LBB19_24:                              ;   Parent Loop BB19_5 Depth=1
                                        ; =>  This Loop Header: Depth=2
                                        ;       Child Loop BB19_26 Depth 3
	v_add_nc_u32_e32 v19, v27, v26
	s_mov_b32 s25, exec_lo
	v_ashrrev_i32_e32 v20, 1, v19
	v_ashrrev_i32_e32 v19, 31, v18
	;; [unrolled: 1-line block ×3, first 2 shown]
	v_lshlrev_b64 v[28:29], 2, v[18:19]
	v_lshlrev_b64 v[30:31], 2, v[20:21]
	v_add_co_u32 v28, vcc_lo, s4, v28
	v_add_co_ci_u32_e64 v29, null, s5, v29, vcc_lo
	v_add_co_u32 v30, vcc_lo, s4, v30
	v_add_co_ci_u32_e64 v31, null, s5, v31, vcc_lo
	s_clause 0x1
	global_load_dword v28, v[28:29], off
	global_load_dword v29, v[30:31], off
	v_cmpx_lt_i32_e64 v27, v26
	s_cbranch_execz .LBB19_28
; %bb.25:                               ;   in Loop: Header=BB19_24 Depth=2
	v_mov_b32_e32 v30, v26
	s_mov_b32 s26, 0
	.p2align	6
.LBB19_26:                              ;   Parent Loop BB19_5 Depth=1
                                        ;     Parent Loop BB19_24 Depth=2
                                        ; =>    This Inner Loop Header: Depth=3
	v_add_nc_u32_e32 v21, 1, v20
	s_waitcnt vmcnt(0)
	v_cmp_lt_i32_e32 vcc_lo, v29, v28
	v_cndmask_b32_e32 v27, v27, v21, vcc_lo
	v_cndmask_b32_e32 v30, v20, v30, vcc_lo
	v_add_nc_u32_e32 v20, v30, v27
	v_ashrrev_i32_e32 v20, 1, v20
	v_ashrrev_i32_e32 v21, 31, v20
	v_lshlrev_b64 v[31:32], 2, v[20:21]
	v_add_co_u32 v31, vcc_lo, s4, v31
	v_add_co_ci_u32_e64 v32, null, s5, v32, vcc_lo
	v_cmp_ge_i32_e32 vcc_lo, v27, v30
	global_load_dword v29, v[31:32], off
	s_or_b32 s26, vcc_lo, s26
	s_andn2_b32 exec_lo, exec_lo, s26
	s_cbranch_execnz .LBB19_26
; %bb.27:                               ;   in Loop: Header=BB19_24 Depth=2
	s_or_b32 exec_lo, exec_lo, s26
.LBB19_28:                              ;   in Loop: Header=BB19_24 Depth=2
	s_or_b32 exec_lo, exec_lo, s25
	s_mov_b32 s25, exec_lo
	s_waitcnt vmcnt(0)
	v_cmpx_eq_u32_e64 v29, v28
	s_cbranch_execz .LBB19_23
; %bb.29:                               ;   in Loop: Header=BB19_24 Depth=2
	v_lshlrev_b64 v[28:29], 3, v[18:19]
	v_lshlrev_b64 v[19:20], 3, v[20:21]
	v_add_co_u32 v28, vcc_lo, s8, v28
	v_add_co_ci_u32_e64 v29, null, s9, v29, vcc_lo
	v_add_co_u32 v19, vcc_lo, s8, v19
	v_add_co_ci_u32_e64 v20, null, s9, v20, vcc_lo
	s_clause 0x1
	global_load_dwordx2 v[28:29], v[28:29], off
	global_load_dwordx2 v[19:20], v[19:20], off
	s_waitcnt vmcnt(0)
	v_fma_f64 v[16:17], v[28:29], v[19:20], v[16:17]
	s_branch .LBB19_23
.LBB19_30:                              ;   in Loop: Header=BB19_5 Depth=1
	s_or_b32 exec_lo, exec_lo, s24
.LBB19_31:                              ;   in Loop: Header=BB19_5 Depth=1
	s_or_b32 exec_lo, exec_lo, s23
	v_xor_b32_e32 v15, 16, v25
	v_cmp_gt_i32_e32 vcc_lo, 32, v15
	v_cndmask_b32_e32 v15, v25, v15, vcc_lo
	v_lshlrev_b32_e32 v15, 2, v15
	ds_bpermute_b32 v18, v15, v16
	ds_bpermute_b32 v19, v15, v17
	s_waitcnt lgkmcnt(0)
	v_add_f64 v[15:16], v[16:17], v[18:19]
	v_xor_b32_e32 v17, 8, v25
	v_cmp_gt_i32_e32 vcc_lo, 32, v17
	v_cndmask_b32_e32 v17, v25, v17, vcc_lo
	v_lshlrev_b32_e32 v18, 2, v17
	ds_bpermute_b32 v17, v18, v15
	ds_bpermute_b32 v18, v18, v16
	s_waitcnt lgkmcnt(0)
	v_add_f64 v[15:16], v[15:16], v[17:18]
	v_xor_b32_e32 v17, 4, v25
	v_cmp_gt_i32_e32 vcc_lo, 32, v17
	v_cndmask_b32_e32 v17, v25, v17, vcc_lo
	v_lshlrev_b32_e32 v18, 2, v17
	ds_bpermute_b32 v17, v18, v15
	ds_bpermute_b32 v18, v18, v16
	s_waitcnt lgkmcnt(0)
	v_add_f64 v[15:16], v[15:16], v[17:18]
	v_xor_b32_e32 v17, 2, v25
	v_cmp_gt_i32_e32 vcc_lo, 32, v17
	v_cndmask_b32_e32 v17, v25, v17, vcc_lo
	v_lshlrev_b32_e32 v18, 2, v17
	ds_bpermute_b32 v17, v18, v15
	ds_bpermute_b32 v18, v18, v16
	s_waitcnt lgkmcnt(0)
	v_add_f64 v[15:16], v[15:16], v[17:18]
	v_xor_b32_e32 v17, 1, v25
	v_cmp_gt_i32_e32 vcc_lo, 32, v17
	v_cndmask_b32_e32 v17, v25, v17, vcc_lo
	v_lshlrev_b32_e32 v18, 2, v17
	ds_bpermute_b32 v17, v18, v15
	ds_bpermute_b32 v18, v18, v16
	s_and_saveexec_b32 s23, s1
	s_cbranch_execz .LBB19_3
; %bb.32:                               ;   in Loop: Header=BB19_5 Depth=1
	v_div_scale_f64 v[19:20], null, v[13:14], v[13:14], 1.0
	v_div_scale_f64 v[31:32], vcc_lo, 1.0, v[13:14], 1.0
	s_waitcnt lgkmcnt(0)
	v_add_f64 v[15:16], v[15:16], v[17:18]
	v_rcp_f64_e32 v[27:28], v[19:20]
	v_add_f64 v[11:12], v[11:12], -v[15:16]
	v_fma_f64 v[29:30], -v[19:20], v[27:28], 1.0
	v_fma_f64 v[27:28], v[27:28], v[29:30], v[27:28]
	v_fma_f64 v[29:30], -v[19:20], v[27:28], 1.0
	v_fma_f64 v[27:28], v[27:28], v[29:30], v[27:28]
	v_mul_f64 v[29:30], v[31:32], v[27:28]
	v_fma_f64 v[19:20], -v[19:20], v[29:30], v[31:32]
	v_div_fmas_f64 v[19:20], v[19:20], v[27:28], v[29:30]
	v_div_fixup_f64 v[13:14], v[19:20], v[13:14], 1.0
	v_mul_f64 v[11:12], v[13:14], v[11:12]
	v_fma_f64 v[6:7], v[11:12], v[11:12], v[6:7]
	global_store_dwordx2 v[9:10], v[11:12], off
	s_branch .LBB19_3
.LBB19_33:
	s_or_b32 exec_lo, exec_lo, s21
.LBB19_34:
	s_or_b32 exec_lo, exec_lo, s20
	v_cmp_eq_u32_e32 vcc_lo, 31, v0
	v_cmp_lt_i32_e64 s0, -1, v4
	s_and_b32 s0, vcc_lo, s0
	s_and_saveexec_b32 s2, s0
	s_cbranch_execz .LBB19_45
; %bb.35:
	v_mov_b32_e32 v5, 0
	v_mul_f64 v[10:11], s[6:7], s[6:7]
	v_add_nc_u32_e32 v0, s3, v3
	s_mov_b32 s1, exec_lo
	v_lshlrev_b64 v[4:5], 3, v[4:5]
	v_add_co_u32 v4, s0, s8, v4
	v_add_co_ci_u32_e64 v5, null, s9, v5, s0
	global_load_dwordx2 v[8:9], v[4:5], off
	s_waitcnt vmcnt(0)
	v_add_f64 v[6:7], v[8:9], -v[6:7]
	v_cmpx_le_f64_e32 v[6:7], v[10:11]
	s_cbranch_execz .LBB19_40
; %bb.36:
	s_mov_b32 s0, exec_lo
	s_brev_b32 s3, -2
.LBB19_37:                              ; =>This Inner Loop Header: Depth=1
	s_ff1_i32_b32 s4, s0
	v_readlane_b32 s5, v0, s4
	s_lshl_b32 s4, 1, s4
	s_andn2_b32 s0, s0, s4
	s_min_i32 s3, s3, s5
	s_cmp_lg_u32 s0, 0
	s_cbranch_scc1 .LBB19_37
; %bb.38:
	v_mbcnt_lo_u32_b32 v3, exec_lo, 0
	s_mov_b32 s4, exec_lo
	v_cmpx_eq_u32_e32 0, v3
	s_xor_b32 s4, exec_lo, s4
	s_cbranch_execz .LBB19_40
; %bb.39:
	v_mov_b32_e32 v3, 0
	v_mov_b32_e32 v8, s3
	global_atomic_smin v3, v8, s[18:19]
.LBB19_40:
	s_or_b32 exec_lo, exec_lo, s1
	v_cmp_gt_f64_e64 s0, 0, v[6:7]
	v_xor_b32_e32 v3, 0x80000000, v7
	v_mov_b32_e32 v8, v6
	v_cmp_eq_f64_e64 s1, 0, v[6:7]
	v_cndmask_b32_e64 v9, v7, v3, s0
	v_cmp_gt_f64_e64 s0, 0x10000000, v[8:9]
	v_cndmask_b32_e64 v3, 0, 0x100, s0
	v_ldexp_f64 v[8:9], v[8:9], v3
	v_cndmask_b32_e64 v3, 0, 0xffffff80, s0
	v_rsq_f64_e32 v[10:11], v[8:9]
	v_cmp_class_f64_e64 s0, v[8:9], 0x260
	v_mul_f64 v[12:13], v[8:9], v[10:11]
	v_mul_f64 v[10:11], v[10:11], 0.5
	v_fma_f64 v[14:15], -v[10:11], v[12:13], 0.5
	v_fma_f64 v[12:13], v[12:13], v[14:15], v[12:13]
	v_fma_f64 v[10:11], v[10:11], v[14:15], v[10:11]
	v_fma_f64 v[14:15], -v[12:13], v[12:13], v[8:9]
	v_fma_f64 v[12:13], v[14:15], v[10:11], v[12:13]
	v_fma_f64 v[14:15], -v[12:13], v[12:13], v[8:9]
	v_fma_f64 v[10:11], v[14:15], v[10:11], v[12:13]
	v_ldexp_f64 v[10:11], v[10:11], v3
	v_cndmask_b32_e64 v7, v11, v9, s0
	v_cndmask_b32_e64 v6, v10, v8, s0
	global_store_dwordx2 v[4:5], v[6:7], off
	s_and_b32 exec_lo, exec_lo, s1
	s_cbranch_execz .LBB19_45
; %bb.41:
	s_mov_b32 s0, exec_lo
	s_brev_b32 s1, -2
.LBB19_42:                              ; =>This Inner Loop Header: Depth=1
	s_ff1_i32_b32 s3, s0
	v_readlane_b32 s4, v0, s3
	s_lshl_b32 s3, 1, s3
	s_andn2_b32 s0, s0, s3
	s_min_i32 s1, s1, s4
	s_cmp_lg_u32 s0, 0
	s_cbranch_scc1 .LBB19_42
; %bb.43:
	v_mbcnt_lo_u32_b32 v0, exec_lo, 0
	s_mov_b32 s3, exec_lo
	v_cmpx_eq_u32_e32 0, v0
	s_xor_b32 s3, exec_lo, s3
	s_cbranch_execz .LBB19_45
; %bb.44:
	v_mov_b32_e32 v0, 0
	v_mov_b32_e32 v3, s1
	global_atomic_smin v0, v3, s[16:17]
.LBB19_45:
	s_or_b32 exec_lo, exec_lo, s2
	s_and_b32 exec_lo, exec_lo, vcc_lo
	s_cbranch_execz .LBB19_47
; %bb.46:
	v_add_co_u32 v0, vcc_lo, s12, v1
	v_add_co_ci_u32_e64 v1, null, s13, v2, vcc_lo
	v_mov_b32_e32 v2, 1
	s_waitcnt lgkmcnt(0)
	s_waitcnt_vscnt null, 0x0
	global_store_dword v[0:1], v2, off
.LBB19_47:
	s_endpgm
	.section	.rodata,"a",@progbits
	.p2align	6, 0x0
	.amdhsa_kernel _ZN9rocsparseL23csric0_binsearch_kernelILj256ELj32ELb0EdEEviPKiS2_PT2_S2_PiS2_S5_S5_d21rocsparse_index_base_
		.amdhsa_group_segment_fixed_size 0
		.amdhsa_private_segment_fixed_size 0
		.amdhsa_kernarg_size 84
		.amdhsa_user_sgpr_count 6
		.amdhsa_user_sgpr_private_segment_buffer 1
		.amdhsa_user_sgpr_dispatch_ptr 0
		.amdhsa_user_sgpr_queue_ptr 0
		.amdhsa_user_sgpr_kernarg_segment_ptr 1
		.amdhsa_user_sgpr_dispatch_id 0
		.amdhsa_user_sgpr_flat_scratch_init 0
		.amdhsa_user_sgpr_private_segment_size 0
		.amdhsa_wavefront_size32 1
		.amdhsa_uses_dynamic_stack 0
		.amdhsa_system_sgpr_private_segment_wavefront_offset 0
		.amdhsa_system_sgpr_workgroup_id_x 1
		.amdhsa_system_sgpr_workgroup_id_y 0
		.amdhsa_system_sgpr_workgroup_id_z 0
		.amdhsa_system_sgpr_workgroup_info 0
		.amdhsa_system_vgpr_workitem_id 0
		.amdhsa_next_free_vgpr 33
		.amdhsa_next_free_sgpr 28
		.amdhsa_reserve_vcc 1
		.amdhsa_reserve_flat_scratch 0
		.amdhsa_float_round_mode_32 0
		.amdhsa_float_round_mode_16_64 0
		.amdhsa_float_denorm_mode_32 3
		.amdhsa_float_denorm_mode_16_64 3
		.amdhsa_dx10_clamp 1
		.amdhsa_ieee_mode 1
		.amdhsa_fp16_overflow 0
		.amdhsa_workgroup_processor_mode 1
		.amdhsa_memory_ordered 1
		.amdhsa_forward_progress 1
		.amdhsa_shared_vgpr_count 0
		.amdhsa_exception_fp_ieee_invalid_op 0
		.amdhsa_exception_fp_denorm_src 0
		.amdhsa_exception_fp_ieee_div_zero 0
		.amdhsa_exception_fp_ieee_overflow 0
		.amdhsa_exception_fp_ieee_underflow 0
		.amdhsa_exception_fp_ieee_inexact 0
		.amdhsa_exception_int_div_zero 0
	.end_amdhsa_kernel
	.section	.text._ZN9rocsparseL23csric0_binsearch_kernelILj256ELj32ELb0EdEEviPKiS2_PT2_S2_PiS2_S5_S5_d21rocsparse_index_base_,"axG",@progbits,_ZN9rocsparseL23csric0_binsearch_kernelILj256ELj32ELb0EdEEviPKiS2_PT2_S2_PiS2_S5_S5_d21rocsparse_index_base_,comdat
.Lfunc_end19:
	.size	_ZN9rocsparseL23csric0_binsearch_kernelILj256ELj32ELb0EdEEviPKiS2_PT2_S2_PiS2_S5_S5_d21rocsparse_index_base_, .Lfunc_end19-_ZN9rocsparseL23csric0_binsearch_kernelILj256ELj32ELb0EdEEviPKiS2_PT2_S2_PiS2_S5_S5_d21rocsparse_index_base_
                                        ; -- End function
	.set _ZN9rocsparseL23csric0_binsearch_kernelILj256ELj32ELb0EdEEviPKiS2_PT2_S2_PiS2_S5_S5_d21rocsparse_index_base_.num_vgpr, 33
	.set _ZN9rocsparseL23csric0_binsearch_kernelILj256ELj32ELb0EdEEviPKiS2_PT2_S2_PiS2_S5_S5_d21rocsparse_index_base_.num_agpr, 0
	.set _ZN9rocsparseL23csric0_binsearch_kernelILj256ELj32ELb0EdEEviPKiS2_PT2_S2_PiS2_S5_S5_d21rocsparse_index_base_.numbered_sgpr, 28
	.set _ZN9rocsparseL23csric0_binsearch_kernelILj256ELj32ELb0EdEEviPKiS2_PT2_S2_PiS2_S5_S5_d21rocsparse_index_base_.num_named_barrier, 0
	.set _ZN9rocsparseL23csric0_binsearch_kernelILj256ELj32ELb0EdEEviPKiS2_PT2_S2_PiS2_S5_S5_d21rocsparse_index_base_.private_seg_size, 0
	.set _ZN9rocsparseL23csric0_binsearch_kernelILj256ELj32ELb0EdEEviPKiS2_PT2_S2_PiS2_S5_S5_d21rocsparse_index_base_.uses_vcc, 1
	.set _ZN9rocsparseL23csric0_binsearch_kernelILj256ELj32ELb0EdEEviPKiS2_PT2_S2_PiS2_S5_S5_d21rocsparse_index_base_.uses_flat_scratch, 0
	.set _ZN9rocsparseL23csric0_binsearch_kernelILj256ELj32ELb0EdEEviPKiS2_PT2_S2_PiS2_S5_S5_d21rocsparse_index_base_.has_dyn_sized_stack, 0
	.set _ZN9rocsparseL23csric0_binsearch_kernelILj256ELj32ELb0EdEEviPKiS2_PT2_S2_PiS2_S5_S5_d21rocsparse_index_base_.has_recursion, 0
	.set _ZN9rocsparseL23csric0_binsearch_kernelILj256ELj32ELb0EdEEviPKiS2_PT2_S2_PiS2_S5_S5_d21rocsparse_index_base_.has_indirect_call, 0
	.section	.AMDGPU.csdata,"",@progbits
; Kernel info:
; codeLenInByte = 2100
; TotalNumSgprs: 30
; NumVgprs: 33
; ScratchSize: 0
; MemoryBound: 1
; FloatMode: 240
; IeeeMode: 1
; LDSByteSize: 0 bytes/workgroup (compile time only)
; SGPRBlocks: 0
; VGPRBlocks: 4
; NumSGPRsForWavesPerEU: 30
; NumVGPRsForWavesPerEU: 33
; Occupancy: 16
; WaveLimiterHint : 1
; COMPUTE_PGM_RSRC2:SCRATCH_EN: 0
; COMPUTE_PGM_RSRC2:USER_SGPR: 6
; COMPUTE_PGM_RSRC2:TRAP_HANDLER: 0
; COMPUTE_PGM_RSRC2:TGID_X_EN: 1
; COMPUTE_PGM_RSRC2:TGID_Y_EN: 0
; COMPUTE_PGM_RSRC2:TGID_Z_EN: 0
; COMPUTE_PGM_RSRC2:TIDIG_COMP_CNT: 0
	.section	.text._ZN9rocsparseL18csric0_hash_kernelILj256ELj64ELj1EdEEviPKiS2_PT2_S2_PiS2_S5_S5_d21rocsparse_index_base_,"axG",@progbits,_ZN9rocsparseL18csric0_hash_kernelILj256ELj64ELj1EdEEviPKiS2_PT2_S2_PiS2_S5_S5_d21rocsparse_index_base_,comdat
	.globl	_ZN9rocsparseL18csric0_hash_kernelILj256ELj64ELj1EdEEviPKiS2_PT2_S2_PiS2_S5_S5_d21rocsparse_index_base_ ; -- Begin function _ZN9rocsparseL18csric0_hash_kernelILj256ELj64ELj1EdEEviPKiS2_PT2_S2_PiS2_S5_S5_d21rocsparse_index_base_
	.p2align	8
	.type	_ZN9rocsparseL18csric0_hash_kernelILj256ELj64ELj1EdEEviPKiS2_PT2_S2_PiS2_S5_S5_d21rocsparse_index_base_,@function
_ZN9rocsparseL18csric0_hash_kernelILj256ELj64ELj1EdEEviPKiS2_PT2_S2_PiS2_S5_S5_d21rocsparse_index_base_: ; @_ZN9rocsparseL18csric0_hash_kernelILj256ELj64ELj1EdEEviPKiS2_PT2_S2_PiS2_S5_S5_d21rocsparse_index_base_
; %bb.0:
	s_load_dword s0, s[4:5], 0x0
	v_and_b32_e32 v6, 0xc0, v0
	v_lshrrev_b32_e32 v1, 6, v0
	s_lshl_b32 s1, s6, 2
	v_and_b32_e32 v19, 63, v0
	v_mov_b32_e32 v2, -1
	v_lshl_or_b32 v20, v6, 2, 0x400
	v_and_or_b32 v0, 0x3fffffc, s1, v1
	v_lshl_or_b32 v1, v19, 2, v20
	ds_write_b32 v1, v2
	s_waitcnt lgkmcnt(0)
	buffer_gl0_inv
	v_cmp_gt_i32_e32 vcc_lo, s0, v0
	s_and_saveexec_b32 s0, vcc_lo
	s_cbranch_execz .LBB20_46
; %bb.1:
	s_load_dwordx8 s[8:15], s[4:5], 0x28
	v_lshlrev_b32_e32 v0, 2, v0
	s_clause 0x1
	s_load_dwordx8 s[16:23], s[4:5], 0x8
	s_load_dword s2, s[4:5], 0x50
	v_lshlrev_b32_e32 v21, 2, v6
	s_mov_b32 s0, exec_lo
	s_waitcnt lgkmcnt(0)
	global_load_dword v2, v0, s[10:11]
	s_waitcnt vmcnt(0)
	v_ashrrev_i32_e32 v3, 31, v2
	v_lshlrev_b64 v[0:1], 2, v[2:3]
	v_add_co_u32 v3, vcc_lo, s16, v0
	v_add_co_ci_u32_e64 v4, null, s17, v1, vcc_lo
	v_add_co_u32 v7, vcc_lo, s22, v0
	v_add_co_ci_u32_e64 v8, null, s23, v1, vcc_lo
	global_load_dwordx2 v[4:5], v[3:4], off
	global_load_dword v3, v[7:8], off
	s_waitcnt vmcnt(1)
	v_subrev_nc_u32_e32 v4, s2, v4
	v_subrev_nc_u32_e32 v7, s2, v5
	v_add_nc_u32_e32 v5, v4, v19
	v_cmpx_lt_i32_e64 v5, v7
	s_cbranch_execz .LBB20_11
; %bb.2:
	v_mov_b32_e32 v8, -1
	s_mov_b32 s1, 0
	s_branch .LBB20_4
.LBB20_3:                               ;   in Loop: Header=BB20_4 Depth=1
	s_or_b32 exec_lo, exec_lo, s3
	v_add_nc_u32_e32 v5, 64, v5
	v_cmp_ge_i32_e32 vcc_lo, v5, v7
	s_or_b32 s1, vcc_lo, s1
	s_andn2_b32 exec_lo, exec_lo, s1
	s_cbranch_execz .LBB20_11
.LBB20_4:                               ; =>This Loop Header: Depth=1
                                        ;     Child Loop BB20_7 Depth 2
	v_ashrrev_i32_e32 v6, 31, v5
	s_mov_b32 s3, exec_lo
	v_lshlrev_b64 v[9:10], 2, v[5:6]
	v_add_co_u32 v9, vcc_lo, s18, v9
	v_add_co_ci_u32_e64 v10, null, s19, v10, vcc_lo
	global_load_dword v6, v[9:10], off
	s_waitcnt vmcnt(0)
	v_mul_lo_u32 v9, v6, 39
	v_and_b32_e32 v9, 63, v9
	v_lshl_add_u32 v10, v9, 2, v20
	ds_read_b32 v11, v10
	s_waitcnt lgkmcnt(0)
	v_cmpx_ne_u32_e64 v11, v6
	s_cbranch_execz .LBB20_3
; %bb.5:                                ;   in Loop: Header=BB20_4 Depth=1
	s_mov_b32 s6, 0
                                        ; implicit-def: $sgpr7
                                        ; implicit-def: $sgpr11
                                        ; implicit-def: $sgpr10
	s_inst_prefetch 0x1
	s_branch .LBB20_7
	.p2align	6
.LBB20_6:                               ;   in Loop: Header=BB20_7 Depth=2
	s_or_b32 exec_lo, exec_lo, s24
	s_and_b32 s24, exec_lo, s11
	s_or_b32 s6, s24, s6
	s_andn2_b32 s7, s7, exec_lo
	s_and_b32 s24, s10, exec_lo
	s_or_b32 s7, s7, s24
	s_andn2_b32 exec_lo, exec_lo, s6
	s_cbranch_execz .LBB20_9
.LBB20_7:                               ;   Parent Loop BB20_4 Depth=1
                                        ; =>  This Inner Loop Header: Depth=2
	ds_cmpst_rtn_b32 v10, v10, v8, v6
	v_mov_b32_e32 v11, v9
	s_or_b32 s10, s10, exec_lo
	s_or_b32 s11, s11, exec_lo
                                        ; implicit-def: $vgpr9
	s_waitcnt lgkmcnt(0)
	v_cmp_ne_u32_e32 vcc_lo, -1, v10
                                        ; implicit-def: $vgpr10
	s_and_saveexec_b32 s24, vcc_lo
	s_cbranch_execz .LBB20_6
; %bb.8:                                ;   in Loop: Header=BB20_7 Depth=2
	v_add_nc_u32_e32 v9, 1, v11
	s_andn2_b32 s11, s11, exec_lo
	s_andn2_b32 s10, s10, exec_lo
	v_and_b32_e32 v9, 63, v9
	v_lshl_add_u32 v10, v9, 2, v20
	ds_read_b32 v12, v10
	s_waitcnt lgkmcnt(0)
	v_cmp_eq_u32_e32 vcc_lo, v12, v6
	s_and_b32 s25, vcc_lo, exec_lo
	s_or_b32 s11, s11, s25
	s_branch .LBB20_6
.LBB20_9:                               ;   in Loop: Header=BB20_4 Depth=1
	s_inst_prefetch 0x2
	s_or_b32 exec_lo, exec_lo, s6
	s_and_saveexec_b32 s6, s7
	s_xor_b32 s6, exec_lo, s6
	s_cbranch_execz .LBB20_3
; %bb.10:                               ;   in Loop: Header=BB20_4 Depth=1
	v_lshl_add_u32 v6, v11, 2, v21
	ds_write_b32 v6, v5
	s_branch .LBB20_3
.LBB20_11:
	s_or_b32 exec_lo, exec_lo, s0
	v_mov_b32_e32 v6, 0
	v_mov_b32_e32 v7, 0
	s_mov_b32 s3, exec_lo
	s_waitcnt vmcnt(0) lgkmcnt(0)
	buffer_gl0_inv
	v_cmpx_lt_i32_e64 v4, v3
	s_cbranch_execz .LBB20_33
; %bb.12:
	v_mov_b32_e32 v6, 0
	v_add_nc_u32_e32 v22, -1, v3
	v_subrev_nc_u32_e32 v23, s2, v19
	v_cmp_eq_u32_e64 s0, 63, v19
	v_mov_b32_e32 v7, 0
	v_mbcnt_lo_u32_b32 v24, -1, 0
	s_mov_b32 s6, 0
	s_branch .LBB20_15
.LBB20_13:                              ;   in Loop: Header=BB20_15 Depth=1
	s_or_b32 exec_lo, exec_lo, s10
.LBB20_14:                              ;   in Loop: Header=BB20_15 Depth=1
	s_or_b32 exec_lo, exec_lo, s7
	v_add_nc_u32_e32 v4, 1, v4
	s_xor_b32 s1, s1, -1
	v_cmp_ge_i32_e32 vcc_lo, v4, v3
	s_or_b32 s1, s1, vcc_lo
	s_and_b32 s1, exec_lo, s1
	s_or_b32 s6, s1, s6
	s_andn2_b32 exec_lo, exec_lo, s6
	s_cbranch_execz .LBB20_32
.LBB20_15:                              ; =>This Loop Header: Depth=1
                                        ;     Child Loop BB20_16 Depth 2
                                        ;     Child Loop BB20_22 Depth 2
                                        ;       Child Loop BB20_25 Depth 3
	v_ashrrev_i32_e32 v5, 31, v4
	s_mov_b32 s1, 0
	v_lshlrev_b64 v[8:9], 2, v[4:5]
	v_lshlrev_b64 v[10:11], 3, v[4:5]
	v_add_co_u32 v8, vcc_lo, s18, v8
	v_add_co_ci_u32_e64 v9, null, s19, v9, vcc_lo
	global_load_dword v8, v[8:9], off
	s_waitcnt vmcnt(0)
	v_subrev_nc_u32_e32 v8, s2, v8
	v_ashrrev_i32_e32 v9, 31, v8
	v_lshlrev_b64 v[12:13], 2, v[8:9]
	v_add_co_u32 v8, vcc_lo, s20, v10
	v_add_co_ci_u32_e64 v9, null, s21, v11, vcc_lo
	v_add_co_u32 v14, vcc_lo, s16, v12
	v_add_co_ci_u32_e64 v15, null, s17, v13, vcc_lo
	s_waitcnt lgkmcnt(1)
	v_add_co_u32 v16, vcc_lo, s22, v12
	s_waitcnt lgkmcnt(0)
	v_add_co_ci_u32_e64 v17, null, s23, v13, vcc_lo
	global_load_dwordx2 v[10:11], v[8:9], off
	global_load_dword v5, v[14:15], off
	global_load_dword v14, v[16:17], off
	v_add_co_u32 v12, vcc_lo, s8, v12
	v_add_co_ci_u32_e64 v13, null, s9, v13, vcc_lo
.LBB20_16:                              ;   Parent Loop BB20_15 Depth=1
                                        ; =>  This Inner Loop Header: Depth=2
	global_load_dword v15, v[12:13], off glc dlc
	s_waitcnt vmcnt(0)
	v_cmp_ne_u32_e32 vcc_lo, 0, v15
	s_or_b32 s1, vcc_lo, s1
	s_andn2_b32 exec_lo, exec_lo, s1
	s_cbranch_execnz .LBB20_16
; %bb.17:                               ;   in Loop: Header=BB20_15 Depth=1
	s_or_b32 exec_lo, exec_lo, s1
	v_cmp_eq_u32_e32 vcc_lo, -1, v14
	buffer_gl1_inv
	buffer_gl0_inv
	v_cndmask_b32_e32 v14, v14, v22, vcc_lo
	v_ashrrev_i32_e32 v15, 31, v14
	v_lshlrev_b64 v[12:13], 3, v[14:15]
	v_add_co_u32 v12, vcc_lo, s20, v12
	v_add_co_ci_u32_e64 v13, null, s21, v13, vcc_lo
	global_load_dwordx2 v[12:13], v[12:13], off
	s_waitcnt vmcnt(0)
	v_cmp_neq_f64_e64 s1, 0, v[12:13]
	s_and_saveexec_b32 s7, s1
	s_cbranch_execz .LBB20_14
; %bb.18:                               ;   in Loop: Header=BB20_15 Depth=1
	v_mov_b32_e32 v15, 0
	v_add_nc_u32_e32 v17, v23, v5
	v_mov_b32_e32 v16, 0
	s_mov_b32 s10, exec_lo
	v_cmpx_lt_i32_e64 v17, v14
	s_cbranch_execz .LBB20_30
; %bb.19:                               ;   in Loop: Header=BB20_15 Depth=1
	v_mov_b32_e32 v15, 0
	v_mov_b32_e32 v16, 0
	s_mov_b32 s11, 0
	s_branch .LBB20_22
.LBB20_20:                              ;   in Loop: Header=BB20_22 Depth=2
	s_or_b32 exec_lo, exec_lo, s25
.LBB20_21:                              ;   in Loop: Header=BB20_22 Depth=2
	s_or_b32 exec_lo, exec_lo, s24
	v_add_nc_u32_e32 v17, 64, v17
	v_cmp_ge_i32_e32 vcc_lo, v17, v14
	s_or_b32 s11, vcc_lo, s11
	s_andn2_b32 exec_lo, exec_lo, s11
	s_cbranch_execz .LBB20_29
.LBB20_22:                              ;   Parent Loop BB20_15 Depth=1
                                        ; =>  This Loop Header: Depth=2
                                        ;       Child Loop BB20_25 Depth 3
	v_ashrrev_i32_e32 v18, 31, v17
	s_mov_b32 s24, exec_lo
	v_lshlrev_b64 v[25:26], 2, v[17:18]
	v_add_co_u32 v25, vcc_lo, s18, v25
	v_add_co_ci_u32_e64 v26, null, s19, v26, vcc_lo
	global_load_dword v5, v[25:26], off
	s_waitcnt vmcnt(0)
	v_mul_lo_u32 v25, v5, 39
	v_and_b32_e32 v27, 63, v25
	v_lshl_add_u32 v25, v27, 2, v20
	ds_read_b32 v26, v25
	s_waitcnt lgkmcnt(0)
	v_cmpx_ne_u32_e32 -1, v26
	s_cbranch_execz .LBB20_21
; %bb.23:                               ;   in Loop: Header=BB20_22 Depth=2
	s_mov_b32 s25, 0
                                        ; implicit-def: $sgpr26
                                        ; implicit-def: $sgpr28
                                        ; implicit-def: $sgpr27
	s_inst_prefetch 0x1
	s_branch .LBB20_25
	.p2align	6
.LBB20_24:                              ;   in Loop: Header=BB20_25 Depth=3
	s_or_b32 exec_lo, exec_lo, s29
	s_and_b32 s29, exec_lo, s28
	s_or_b32 s25, s29, s25
	s_andn2_b32 s26, s26, exec_lo
	s_and_b32 s29, s27, exec_lo
	s_or_b32 s26, s26, s29
	s_andn2_b32 exec_lo, exec_lo, s25
	s_cbranch_execz .LBB20_27
.LBB20_25:                              ;   Parent Loop BB20_15 Depth=1
                                        ;     Parent Loop BB20_22 Depth=2
                                        ; =>    This Inner Loop Header: Depth=3
	v_mov_b32_e32 v25, v27
	v_cmp_ne_u32_e32 vcc_lo, v26, v5
	s_or_b32 s27, s27, exec_lo
	s_or_b32 s28, s28, exec_lo
                                        ; implicit-def: $vgpr27
                                        ; implicit-def: $vgpr26
	s_and_saveexec_b32 s29, vcc_lo
	s_cbranch_execz .LBB20_24
; %bb.26:                               ;   in Loop: Header=BB20_25 Depth=3
	v_add_nc_u32_e32 v26, 1, v25
	s_andn2_b32 s28, s28, exec_lo
	s_andn2_b32 s27, s27, exec_lo
	v_and_b32_e32 v27, 63, v26
	v_lshl_add_u32 v26, v27, 2, v20
	ds_read_b32 v26, v26
	s_waitcnt lgkmcnt(0)
	v_cmp_eq_u32_e32 vcc_lo, -1, v26
	s_and_b32 s30, vcc_lo, exec_lo
	s_or_b32 s28, s28, s30
	s_branch .LBB20_24
.LBB20_27:                              ;   in Loop: Header=BB20_22 Depth=2
	s_inst_prefetch 0x2
	s_or_b32 exec_lo, exec_lo, s25
	s_and_saveexec_b32 s25, s26
	s_xor_b32 s25, exec_lo, s25
	s_cbranch_execz .LBB20_20
; %bb.28:                               ;   in Loop: Header=BB20_22 Depth=2
	v_lshl_add_u32 v5, v25, 2, v21
	v_lshlrev_b64 v[27:28], 3, v[17:18]
	ds_read_b32 v25, v5
	v_add_co_u32 v27, vcc_lo, s20, v27
	v_add_co_ci_u32_e64 v28, null, s21, v28, vcc_lo
	s_waitcnt lgkmcnt(0)
	v_ashrrev_i32_e32 v26, 31, v25
	v_lshlrev_b64 v[25:26], 3, v[25:26]
	v_add_co_u32 v25, vcc_lo, s20, v25
	v_add_co_ci_u32_e64 v26, null, s21, v26, vcc_lo
	s_clause 0x1
	global_load_dwordx2 v[27:28], v[27:28], off
	global_load_dwordx2 v[25:26], v[25:26], off
	s_waitcnt vmcnt(0)
	v_fma_f64 v[15:16], v[27:28], v[25:26], v[15:16]
	s_branch .LBB20_20
.LBB20_29:                              ;   in Loop: Header=BB20_15 Depth=1
	s_or_b32 exec_lo, exec_lo, s11
.LBB20_30:                              ;   in Loop: Header=BB20_15 Depth=1
	s_or_b32 exec_lo, exec_lo, s10
	v_or_b32_e32 v5, 32, v24
	v_cmp_gt_i32_e32 vcc_lo, 32, v5
	v_cndmask_b32_e32 v5, v24, v5, vcc_lo
	v_lshlrev_b32_e32 v5, 2, v5
	ds_bpermute_b32 v17, v5, v15
	ds_bpermute_b32 v18, v5, v16
	v_xor_b32_e32 v5, 16, v24
	v_cmp_gt_i32_e32 vcc_lo, 32, v5
	v_cndmask_b32_e32 v5, v24, v5, vcc_lo
	v_lshlrev_b32_e32 v5, 2, v5
	s_waitcnt lgkmcnt(0)
	v_add_f64 v[14:15], v[15:16], v[17:18]
	ds_bpermute_b32 v16, v5, v14
	ds_bpermute_b32 v17, v5, v15
	v_xor_b32_e32 v5, 8, v24
	v_cmp_gt_i32_e32 vcc_lo, 32, v5
	v_cndmask_b32_e32 v5, v24, v5, vcc_lo
	v_lshlrev_b32_e32 v5, 2, v5
	s_waitcnt lgkmcnt(0)
	v_add_f64 v[14:15], v[14:15], v[16:17]
	;; [unrolled: 8-line block ×5, first 2 shown]
	ds_bpermute_b32 v16, v5, v14
	ds_bpermute_b32 v17, v5, v15
	s_and_saveexec_b32 s10, s0
	s_cbranch_execz .LBB20_13
; %bb.31:                               ;   in Loop: Header=BB20_15 Depth=1
	v_div_scale_f64 v[25:26], null, v[12:13], v[12:13], 1.0
	v_div_scale_f64 v[31:32], vcc_lo, 1.0, v[12:13], 1.0
	s_waitcnt lgkmcnt(0)
	v_add_f64 v[14:15], v[14:15], v[16:17]
	v_rcp_f64_e32 v[27:28], v[25:26]
	v_add_f64 v[10:11], v[10:11], -v[14:15]
	v_fma_f64 v[29:30], -v[25:26], v[27:28], 1.0
	v_fma_f64 v[27:28], v[27:28], v[29:30], v[27:28]
	v_fma_f64 v[29:30], -v[25:26], v[27:28], 1.0
	v_fma_f64 v[27:28], v[27:28], v[29:30], v[27:28]
	v_mul_f64 v[29:30], v[31:32], v[27:28]
	v_fma_f64 v[25:26], -v[25:26], v[29:30], v[31:32]
	v_div_fmas_f64 v[25:26], v[25:26], v[27:28], v[29:30]
	v_div_fixup_f64 v[12:13], v[25:26], v[12:13], 1.0
	v_mul_f64 v[10:11], v[12:13], v[10:11]
	v_fma_f64 v[6:7], v[10:11], v[10:11], v[6:7]
	global_store_dwordx2 v[8:9], v[10:11], off
	s_branch .LBB20_13
.LBB20_32:
	s_or_b32 exec_lo, exec_lo, s6
.LBB20_33:
	s_or_b32 exec_lo, exec_lo, s3
	v_cmp_eq_u32_e32 vcc_lo, 63, v19
	v_cmp_lt_i32_e64 s0, -1, v3
	s_and_b32 s0, vcc_lo, s0
	s_and_saveexec_b32 s3, s0
	s_cbranch_execz .LBB20_44
; %bb.34:
	v_mov_b32_e32 v4, 0
	v_add_nc_u32_e32 v2, s2, v2
	v_lshlrev_b64 v[3:4], 3, v[3:4]
	v_add_co_u32 v3, s0, s20, v3
	v_add_co_ci_u32_e64 v4, null, s21, v4, s0
	s_load_dwordx2 s[0:1], s[4:5], 0x48
	global_load_dwordx2 v[8:9], v[3:4], off
	s_waitcnt lgkmcnt(0)
	v_mul_f64 v[10:11], s[0:1], s[0:1]
	s_mov_b32 s1, exec_lo
	s_waitcnt vmcnt(0)
	v_add_f64 v[5:6], v[8:9], -v[6:7]
	v_cmpx_le_f64_e32 v[5:6], v[10:11]
	s_cbranch_execz .LBB20_39
; %bb.35:
	s_mov_b32 s0, exec_lo
	s_brev_b32 s2, -2
.LBB20_36:                              ; =>This Inner Loop Header: Depth=1
	s_ff1_i32_b32 s4, s0
	v_readlane_b32 s5, v2, s4
	s_lshl_b32 s4, 1, s4
	s_andn2_b32 s0, s0, s4
	s_min_i32 s2, s2, s5
	s_cmp_lg_u32 s0, 0
	s_cbranch_scc1 .LBB20_36
; %bb.37:
	v_mbcnt_lo_u32_b32 v7, exec_lo, 0
	s_mov_b32 s4, exec_lo
	v_cmpx_eq_u32_e32 0, v7
	s_xor_b32 s4, exec_lo, s4
	s_cbranch_execz .LBB20_39
; %bb.38:
	v_mov_b32_e32 v7, 0
	v_mov_b32_e32 v8, s2
	global_atomic_smin v7, v8, s[14:15]
.LBB20_39:
	s_or_b32 exec_lo, exec_lo, s1
	v_cmp_gt_f64_e64 s0, 0, v[5:6]
	v_xor_b32_e32 v8, 0x80000000, v6
	v_mov_b32_e32 v7, v5
	v_cmp_eq_f64_e64 s1, 0, v[5:6]
	v_cndmask_b32_e64 v8, v6, v8, s0
	v_cmp_gt_f64_e64 s0, 0x10000000, v[7:8]
	v_cndmask_b32_e64 v9, 0, 0x100, s0
	v_ldexp_f64 v[7:8], v[7:8], v9
	v_rsq_f64_e32 v[9:10], v[7:8]
	v_mul_f64 v[11:12], v[7:8], v[9:10]
	v_mul_f64 v[9:10], v[9:10], 0.5
	v_fma_f64 v[13:14], -v[9:10], v[11:12], 0.5
	v_fma_f64 v[11:12], v[11:12], v[13:14], v[11:12]
	v_fma_f64 v[9:10], v[9:10], v[13:14], v[9:10]
	v_fma_f64 v[13:14], -v[11:12], v[11:12], v[7:8]
	v_fma_f64 v[11:12], v[13:14], v[9:10], v[11:12]
	v_fma_f64 v[13:14], -v[11:12], v[11:12], v[7:8]
	v_fma_f64 v[9:10], v[13:14], v[9:10], v[11:12]
	v_cndmask_b32_e64 v11, 0, 0xffffff80, s0
	v_cmp_class_f64_e64 s0, v[7:8], 0x260
	v_ldexp_f64 v[9:10], v[9:10], v11
	v_cndmask_b32_e64 v6, v10, v8, s0
	v_cndmask_b32_e64 v5, v9, v7, s0
	global_store_dwordx2 v[3:4], v[5:6], off
	s_and_b32 exec_lo, exec_lo, s1
	s_cbranch_execz .LBB20_44
; %bb.40:
	s_mov_b32 s0, exec_lo
	s_brev_b32 s1, -2
.LBB20_41:                              ; =>This Inner Loop Header: Depth=1
	s_ff1_i32_b32 s2, s0
	v_readlane_b32 s4, v2, s2
	s_lshl_b32 s2, 1, s2
	s_andn2_b32 s0, s0, s2
	s_min_i32 s1, s1, s4
	s_cmp_lg_u32 s0, 0
	s_cbranch_scc1 .LBB20_41
; %bb.42:
	v_mbcnt_lo_u32_b32 v2, exec_lo, 0
	s_mov_b32 s2, exec_lo
	v_cmpx_eq_u32_e32 0, v2
	s_xor_b32 s2, exec_lo, s2
	s_cbranch_execz .LBB20_44
; %bb.43:
	v_mov_b32_e32 v2, 0
	v_mov_b32_e32 v3, s1
	global_atomic_smin v2, v3, s[12:13]
.LBB20_44:
	s_or_b32 exec_lo, exec_lo, s3
	s_and_b32 exec_lo, exec_lo, vcc_lo
	s_cbranch_execz .LBB20_46
; %bb.45:
	v_add_co_u32 v0, vcc_lo, s8, v0
	v_add_co_ci_u32_e64 v1, null, s9, v1, vcc_lo
	v_mov_b32_e32 v2, 1
	s_waitcnt lgkmcnt(0)
	s_waitcnt_vscnt null, 0x0
	global_store_dword v[0:1], v2, off
.LBB20_46:
	s_endpgm
	.section	.rodata,"a",@progbits
	.p2align	6, 0x0
	.amdhsa_kernel _ZN9rocsparseL18csric0_hash_kernelILj256ELj64ELj1EdEEviPKiS2_PT2_S2_PiS2_S5_S5_d21rocsparse_index_base_
		.amdhsa_group_segment_fixed_size 2048
		.amdhsa_private_segment_fixed_size 0
		.amdhsa_kernarg_size 84
		.amdhsa_user_sgpr_count 6
		.amdhsa_user_sgpr_private_segment_buffer 1
		.amdhsa_user_sgpr_dispatch_ptr 0
		.amdhsa_user_sgpr_queue_ptr 0
		.amdhsa_user_sgpr_kernarg_segment_ptr 1
		.amdhsa_user_sgpr_dispatch_id 0
		.amdhsa_user_sgpr_flat_scratch_init 0
		.amdhsa_user_sgpr_private_segment_size 0
		.amdhsa_wavefront_size32 1
		.amdhsa_uses_dynamic_stack 0
		.amdhsa_system_sgpr_private_segment_wavefront_offset 0
		.amdhsa_system_sgpr_workgroup_id_x 1
		.amdhsa_system_sgpr_workgroup_id_y 0
		.amdhsa_system_sgpr_workgroup_id_z 0
		.amdhsa_system_sgpr_workgroup_info 0
		.amdhsa_system_vgpr_workitem_id 0
		.amdhsa_next_free_vgpr 33
		.amdhsa_next_free_sgpr 31
		.amdhsa_reserve_vcc 1
		.amdhsa_reserve_flat_scratch 0
		.amdhsa_float_round_mode_32 0
		.amdhsa_float_round_mode_16_64 0
		.amdhsa_float_denorm_mode_32 3
		.amdhsa_float_denorm_mode_16_64 3
		.amdhsa_dx10_clamp 1
		.amdhsa_ieee_mode 1
		.amdhsa_fp16_overflow 0
		.amdhsa_workgroup_processor_mode 1
		.amdhsa_memory_ordered 1
		.amdhsa_forward_progress 1
		.amdhsa_shared_vgpr_count 0
		.amdhsa_exception_fp_ieee_invalid_op 0
		.amdhsa_exception_fp_denorm_src 0
		.amdhsa_exception_fp_ieee_div_zero 0
		.amdhsa_exception_fp_ieee_overflow 0
		.amdhsa_exception_fp_ieee_underflow 0
		.amdhsa_exception_fp_ieee_inexact 0
		.amdhsa_exception_int_div_zero 0
	.end_amdhsa_kernel
	.section	.text._ZN9rocsparseL18csric0_hash_kernelILj256ELj64ELj1EdEEviPKiS2_PT2_S2_PiS2_S5_S5_d21rocsparse_index_base_,"axG",@progbits,_ZN9rocsparseL18csric0_hash_kernelILj256ELj64ELj1EdEEviPKiS2_PT2_S2_PiS2_S5_S5_d21rocsparse_index_base_,comdat
.Lfunc_end20:
	.size	_ZN9rocsparseL18csric0_hash_kernelILj256ELj64ELj1EdEEviPKiS2_PT2_S2_PiS2_S5_S5_d21rocsparse_index_base_, .Lfunc_end20-_ZN9rocsparseL18csric0_hash_kernelILj256ELj64ELj1EdEEviPKiS2_PT2_S2_PiS2_S5_S5_d21rocsparse_index_base_
                                        ; -- End function
	.set _ZN9rocsparseL18csric0_hash_kernelILj256ELj64ELj1EdEEviPKiS2_PT2_S2_PiS2_S5_S5_d21rocsparse_index_base_.num_vgpr, 33
	.set _ZN9rocsparseL18csric0_hash_kernelILj256ELj64ELj1EdEEviPKiS2_PT2_S2_PiS2_S5_S5_d21rocsparse_index_base_.num_agpr, 0
	.set _ZN9rocsparseL18csric0_hash_kernelILj256ELj64ELj1EdEEviPKiS2_PT2_S2_PiS2_S5_S5_d21rocsparse_index_base_.numbered_sgpr, 31
	.set _ZN9rocsparseL18csric0_hash_kernelILj256ELj64ELj1EdEEviPKiS2_PT2_S2_PiS2_S5_S5_d21rocsparse_index_base_.num_named_barrier, 0
	.set _ZN9rocsparseL18csric0_hash_kernelILj256ELj64ELj1EdEEviPKiS2_PT2_S2_PiS2_S5_S5_d21rocsparse_index_base_.private_seg_size, 0
	.set _ZN9rocsparseL18csric0_hash_kernelILj256ELj64ELj1EdEEviPKiS2_PT2_S2_PiS2_S5_S5_d21rocsparse_index_base_.uses_vcc, 1
	.set _ZN9rocsparseL18csric0_hash_kernelILj256ELj64ELj1EdEEviPKiS2_PT2_S2_PiS2_S5_S5_d21rocsparse_index_base_.uses_flat_scratch, 0
	.set _ZN9rocsparseL18csric0_hash_kernelILj256ELj64ELj1EdEEviPKiS2_PT2_S2_PiS2_S5_S5_d21rocsparse_index_base_.has_dyn_sized_stack, 0
	.set _ZN9rocsparseL18csric0_hash_kernelILj256ELj64ELj1EdEEviPKiS2_PT2_S2_PiS2_S5_S5_d21rocsparse_index_base_.has_recursion, 0
	.set _ZN9rocsparseL18csric0_hash_kernelILj256ELj64ELj1EdEEviPKiS2_PT2_S2_PiS2_S5_S5_d21rocsparse_index_base_.has_indirect_call, 0
	.section	.AMDGPU.csdata,"",@progbits
; Kernel info:
; codeLenInByte = 2328
; TotalNumSgprs: 33
; NumVgprs: 33
; ScratchSize: 0
; MemoryBound: 0
; FloatMode: 240
; IeeeMode: 1
; LDSByteSize: 2048 bytes/workgroup (compile time only)
; SGPRBlocks: 0
; VGPRBlocks: 4
; NumSGPRsForWavesPerEU: 33
; NumVGPRsForWavesPerEU: 33
; Occupancy: 16
; WaveLimiterHint : 1
; COMPUTE_PGM_RSRC2:SCRATCH_EN: 0
; COMPUTE_PGM_RSRC2:USER_SGPR: 6
; COMPUTE_PGM_RSRC2:TRAP_HANDLER: 0
; COMPUTE_PGM_RSRC2:TGID_X_EN: 1
; COMPUTE_PGM_RSRC2:TGID_Y_EN: 0
; COMPUTE_PGM_RSRC2:TGID_Z_EN: 0
; COMPUTE_PGM_RSRC2:TIDIG_COMP_CNT: 0
	.section	.text._ZN9rocsparseL18csric0_hash_kernelILj256ELj64ELj2EdEEviPKiS2_PT2_S2_PiS2_S5_S5_d21rocsparse_index_base_,"axG",@progbits,_ZN9rocsparseL18csric0_hash_kernelILj256ELj64ELj2EdEEviPKiS2_PT2_S2_PiS2_S5_S5_d21rocsparse_index_base_,comdat
	.globl	_ZN9rocsparseL18csric0_hash_kernelILj256ELj64ELj2EdEEviPKiS2_PT2_S2_PiS2_S5_S5_d21rocsparse_index_base_ ; -- Begin function _ZN9rocsparseL18csric0_hash_kernelILj256ELj64ELj2EdEEviPKiS2_PT2_S2_PiS2_S5_S5_d21rocsparse_index_base_
	.p2align	8
	.type	_ZN9rocsparseL18csric0_hash_kernelILj256ELj64ELj2EdEEviPKiS2_PT2_S2_PiS2_S5_S5_d21rocsparse_index_base_,@function
_ZN9rocsparseL18csric0_hash_kernelILj256ELj64ELj2EdEEviPKiS2_PT2_S2_PiS2_S5_S5_d21rocsparse_index_base_: ; @_ZN9rocsparseL18csric0_hash_kernelILj256ELj64ELj2EdEEviPKiS2_PT2_S2_PiS2_S5_S5_d21rocsparse_index_base_
; %bb.0:
	s_clause 0x1
	s_load_dwordx8 s[16:23], s[4:5], 0x8
	s_load_dwordx8 s[8:15], s[4:5], 0x28
	v_lshrrev_b32_e32 v1, 6, v0
	v_and_b32_e32 v20, 63, v0
	s_mov_b32 s0, 0
	v_lshlrev_b32_e32 v3, 9, v1
	v_lshlrev_b32_e32 v4, 2, v20
	v_or_b32_e32 v2, 0xffffffc0, v20
	v_or3_b32 v3, v3, v4, 0x800
	v_mov_b32_e32 v4, -1
.LBB21_1:                               ; =>This Inner Loop Header: Depth=1
	v_add_co_u32 v2, s1, v2, 64
	s_xor_b32 s1, s1, -1
	ds_write_b32 v3, v4
	v_add_nc_u32_e32 v3, 0x100, v3
	s_and_b32 s1, exec_lo, s1
	s_or_b32 s0, s1, s0
	s_andn2_b32 exec_lo, exec_lo, s0
	s_cbranch_execnz .LBB21_1
; %bb.2:
	s_or_b32 exec_lo, exec_lo, s0
	s_load_dword s0, s[4:5], 0x0
	s_lshl_b32 s1, s6, 2
	s_waitcnt lgkmcnt(0)
	buffer_gl0_inv
	v_and_or_b32 v1, 0x3fffffc, s1, v1
	v_cmp_gt_i32_e32 vcc_lo, s0, v1
	s_and_saveexec_b32 s0, vcc_lo
	s_cbranch_execz .LBB21_48
; %bb.3:
	v_lshlrev_b32_e32 v1, 2, v1
	s_load_dword s2, s[4:5], 0x50
	v_lshlrev_b32_e32 v0, 3, v0
	s_mov_b32 s0, exec_lo
	global_load_dword v3, v1, s[10:11]
	v_and_b32_e32 v0, 0x600, v0
	v_or_b32_e32 v21, 0x800, v0
	s_waitcnt vmcnt(0)
	v_ashrrev_i32_e32 v4, 31, v3
	v_lshlrev_b64 v[1:2], 2, v[3:4]
	v_add_co_u32 v4, vcc_lo, s16, v1
	v_add_co_ci_u32_e64 v5, null, s17, v2, vcc_lo
	v_add_co_u32 v7, vcc_lo, s22, v1
	v_add_co_ci_u32_e64 v8, null, s23, v2, vcc_lo
	global_load_dwordx2 v[5:6], v[4:5], off
	global_load_dword v4, v[7:8], off
	s_waitcnt vmcnt(1) lgkmcnt(0)
	v_subrev_nc_u32_e32 v5, s2, v5
	v_subrev_nc_u32_e32 v8, s2, v6
	v_add_nc_u32_e32 v6, v5, v20
	v_cmpx_lt_i32_e64 v6, v8
	s_cbranch_execz .LBB21_13
; %bb.4:
	v_mov_b32_e32 v9, -1
	s_mov_b32 s1, 0
	s_branch .LBB21_6
.LBB21_5:                               ;   in Loop: Header=BB21_6 Depth=1
	s_or_b32 exec_lo, exec_lo, s3
	v_add_nc_u32_e32 v6, 64, v6
	v_cmp_ge_i32_e32 vcc_lo, v6, v8
	s_or_b32 s1, vcc_lo, s1
	s_andn2_b32 exec_lo, exec_lo, s1
	s_cbranch_execz .LBB21_13
.LBB21_6:                               ; =>This Loop Header: Depth=1
                                        ;     Child Loop BB21_9 Depth 2
	v_ashrrev_i32_e32 v7, 31, v6
	s_mov_b32 s3, exec_lo
	v_lshlrev_b64 v[10:11], 2, v[6:7]
	v_add_co_u32 v10, vcc_lo, s18, v10
	v_add_co_ci_u32_e64 v11, null, s19, v11, vcc_lo
	global_load_dword v7, v[10:11], off
	s_waitcnt vmcnt(0)
	v_mul_lo_u32 v10, 0x67, v7
	v_and_b32_e32 v10, 0x7f, v10
	v_lshl_add_u32 v11, v10, 2, v21
	ds_read_b32 v12, v11
	s_waitcnt lgkmcnt(0)
	v_cmpx_ne_u32_e64 v12, v7
	s_cbranch_execz .LBB21_5
; %bb.7:                                ;   in Loop: Header=BB21_6 Depth=1
	s_mov_b32 s6, 0
                                        ; implicit-def: $sgpr7
                                        ; implicit-def: $sgpr11
                                        ; implicit-def: $sgpr10
	s_inst_prefetch 0x1
	s_branch .LBB21_9
	.p2align	6
.LBB21_8:                               ;   in Loop: Header=BB21_9 Depth=2
	s_or_b32 exec_lo, exec_lo, s24
	s_and_b32 s24, exec_lo, s11
	s_or_b32 s6, s24, s6
	s_andn2_b32 s7, s7, exec_lo
	s_and_b32 s24, s10, exec_lo
	s_or_b32 s7, s7, s24
	s_andn2_b32 exec_lo, exec_lo, s6
	s_cbranch_execz .LBB21_11
.LBB21_9:                               ;   Parent Loop BB21_6 Depth=1
                                        ; =>  This Inner Loop Header: Depth=2
	ds_cmpst_rtn_b32 v11, v11, v9, v7
	v_mov_b32_e32 v12, v10
	s_or_b32 s10, s10, exec_lo
	s_or_b32 s11, s11, exec_lo
                                        ; implicit-def: $vgpr10
	s_waitcnt lgkmcnt(0)
	v_cmp_ne_u32_e32 vcc_lo, -1, v11
                                        ; implicit-def: $vgpr11
	s_and_saveexec_b32 s24, vcc_lo
	s_cbranch_execz .LBB21_8
; %bb.10:                               ;   in Loop: Header=BB21_9 Depth=2
	v_add_nc_u32_e32 v10, 1, v12
	s_andn2_b32 s11, s11, exec_lo
	s_andn2_b32 s10, s10, exec_lo
	v_and_b32_e32 v10, 0x7f, v10
	v_lshl_add_u32 v11, v10, 2, v21
	ds_read_b32 v13, v11
	s_waitcnt lgkmcnt(0)
	v_cmp_eq_u32_e32 vcc_lo, v13, v7
	s_and_b32 s25, vcc_lo, exec_lo
	s_or_b32 s11, s11, s25
	s_branch .LBB21_8
.LBB21_11:                              ;   in Loop: Header=BB21_6 Depth=1
	s_inst_prefetch 0x2
	s_or_b32 exec_lo, exec_lo, s6
	s_and_saveexec_b32 s6, s7
	s_xor_b32 s6, exec_lo, s6
	s_cbranch_execz .LBB21_5
; %bb.12:                               ;   in Loop: Header=BB21_6 Depth=1
	v_lshl_add_u32 v7, v12, 2, v0
	ds_write_b32 v7, v6
	s_branch .LBB21_5
.LBB21_13:
	s_or_b32 exec_lo, exec_lo, s0
	v_mov_b32_e32 v7, 0
	v_mov_b32_e32 v8, 0
	s_mov_b32 s3, exec_lo
	s_waitcnt vmcnt(0) lgkmcnt(0)
	buffer_gl0_inv
	v_cmpx_lt_i32_e64 v5, v4
	s_cbranch_execz .LBB21_35
; %bb.14:
	v_mbcnt_lo_u32_b32 v22, -1, 0
	v_mov_b32_e32 v7, 0
	v_add_nc_u32_e32 v23, -1, v4
	v_subrev_nc_u32_e32 v24, s2, v20
	v_cmp_eq_u32_e64 s0, 63, v20
	v_mov_b32_e32 v8, 0
	v_or_b32_e32 v25, 32, v22
	v_xor_b32_e32 v26, 16, v22
	v_xor_b32_e32 v27, 8, v22
	;; [unrolled: 1-line block ×5, first 2 shown]
	s_mov_b32 s6, 0
	s_branch .LBB21_17
.LBB21_15:                              ;   in Loop: Header=BB21_17 Depth=1
	s_or_b32 exec_lo, exec_lo, s10
.LBB21_16:                              ;   in Loop: Header=BB21_17 Depth=1
	s_or_b32 exec_lo, exec_lo, s7
	v_add_nc_u32_e32 v5, 1, v5
	s_xor_b32 s1, s1, -1
	v_cmp_ge_i32_e32 vcc_lo, v5, v4
	s_or_b32 s1, s1, vcc_lo
	s_and_b32 s1, exec_lo, s1
	s_or_b32 s6, s1, s6
	s_andn2_b32 exec_lo, exec_lo, s6
	s_cbranch_execz .LBB21_34
.LBB21_17:                              ; =>This Loop Header: Depth=1
                                        ;     Child Loop BB21_18 Depth 2
                                        ;     Child Loop BB21_24 Depth 2
                                        ;       Child Loop BB21_27 Depth 3
	v_ashrrev_i32_e32 v6, 31, v5
	s_mov_b32 s1, 0
	v_lshlrev_b64 v[9:10], 2, v[5:6]
	v_lshlrev_b64 v[11:12], 3, v[5:6]
	v_add_co_u32 v9, vcc_lo, s18, v9
	v_add_co_ci_u32_e64 v10, null, s19, v10, vcc_lo
	global_load_dword v9, v[9:10], off
	s_waitcnt vmcnt(0)
	v_subrev_nc_u32_e32 v9, s2, v9
	v_ashrrev_i32_e32 v10, 31, v9
	v_lshlrev_b64 v[13:14], 2, v[9:10]
	v_add_co_u32 v9, vcc_lo, s20, v11
	v_add_co_ci_u32_e64 v10, null, s21, v12, vcc_lo
	v_add_co_u32 v15, vcc_lo, s16, v13
	v_add_co_ci_u32_e64 v16, null, s17, v14, vcc_lo
	s_waitcnt lgkmcnt(1)
	v_add_co_u32 v17, vcc_lo, s22, v13
	s_waitcnt lgkmcnt(0)
	v_add_co_ci_u32_e64 v18, null, s23, v14, vcc_lo
	global_load_dwordx2 v[11:12], v[9:10], off
	global_load_dword v6, v[15:16], off
	global_load_dword v15, v[17:18], off
	v_add_co_u32 v13, vcc_lo, s8, v13
	v_add_co_ci_u32_e64 v14, null, s9, v14, vcc_lo
.LBB21_18:                              ;   Parent Loop BB21_17 Depth=1
                                        ; =>  This Inner Loop Header: Depth=2
	global_load_dword v16, v[13:14], off glc dlc
	s_waitcnt vmcnt(0)
	v_cmp_ne_u32_e32 vcc_lo, 0, v16
	s_or_b32 s1, vcc_lo, s1
	s_andn2_b32 exec_lo, exec_lo, s1
	s_cbranch_execnz .LBB21_18
; %bb.19:                               ;   in Loop: Header=BB21_17 Depth=1
	s_or_b32 exec_lo, exec_lo, s1
	v_cmp_eq_u32_e32 vcc_lo, -1, v15
	buffer_gl1_inv
	buffer_gl0_inv
	v_cndmask_b32_e32 v15, v15, v23, vcc_lo
	v_ashrrev_i32_e32 v16, 31, v15
	v_lshlrev_b64 v[13:14], 3, v[15:16]
	v_add_co_u32 v13, vcc_lo, s20, v13
	v_add_co_ci_u32_e64 v14, null, s21, v14, vcc_lo
	global_load_dwordx2 v[13:14], v[13:14], off
	s_waitcnt vmcnt(0)
	v_cmp_neq_f64_e64 s1, 0, v[13:14]
	s_and_saveexec_b32 s7, s1
	s_cbranch_execz .LBB21_16
; %bb.20:                               ;   in Loop: Header=BB21_17 Depth=1
	v_mov_b32_e32 v16, 0
	v_add_nc_u32_e32 v18, v24, v6
	v_mov_b32_e32 v17, 0
	s_mov_b32 s10, exec_lo
	v_cmpx_lt_i32_e64 v18, v15
	s_cbranch_execz .LBB21_32
; %bb.21:                               ;   in Loop: Header=BB21_17 Depth=1
	v_mov_b32_e32 v16, 0
	v_mov_b32_e32 v17, 0
	s_mov_b32 s11, 0
	s_branch .LBB21_24
.LBB21_22:                              ;   in Loop: Header=BB21_24 Depth=2
	s_or_b32 exec_lo, exec_lo, s25
.LBB21_23:                              ;   in Loop: Header=BB21_24 Depth=2
	s_or_b32 exec_lo, exec_lo, s24
	v_add_nc_u32_e32 v18, 64, v18
	v_cmp_ge_i32_e32 vcc_lo, v18, v15
	s_or_b32 s11, vcc_lo, s11
	s_andn2_b32 exec_lo, exec_lo, s11
	s_cbranch_execz .LBB21_31
.LBB21_24:                              ;   Parent Loop BB21_17 Depth=1
                                        ; =>  This Loop Header: Depth=2
                                        ;       Child Loop BB21_27 Depth 3
	v_ashrrev_i32_e32 v19, 31, v18
	s_mov_b32 s24, exec_lo
	v_lshlrev_b64 v[31:32], 2, v[18:19]
	v_add_co_u32 v31, vcc_lo, s18, v31
	v_add_co_ci_u32_e64 v32, null, s19, v32, vcc_lo
	global_load_dword v6, v[31:32], off
	s_waitcnt vmcnt(0)
	v_mul_lo_u32 v31, 0x67, v6
	v_and_b32_e32 v33, 0x7f, v31
	v_lshl_add_u32 v31, v33, 2, v21
	ds_read_b32 v32, v31
	s_waitcnt lgkmcnt(0)
	v_cmpx_ne_u32_e32 -1, v32
	s_cbranch_execz .LBB21_23
; %bb.25:                               ;   in Loop: Header=BB21_24 Depth=2
	s_mov_b32 s25, 0
                                        ; implicit-def: $sgpr26
                                        ; implicit-def: $sgpr28
                                        ; implicit-def: $sgpr27
	s_inst_prefetch 0x1
	s_branch .LBB21_27
	.p2align	6
.LBB21_26:                              ;   in Loop: Header=BB21_27 Depth=3
	s_or_b32 exec_lo, exec_lo, s29
	s_and_b32 s29, exec_lo, s28
	s_or_b32 s25, s29, s25
	s_andn2_b32 s26, s26, exec_lo
	s_and_b32 s29, s27, exec_lo
	s_or_b32 s26, s26, s29
	s_andn2_b32 exec_lo, exec_lo, s25
	s_cbranch_execz .LBB21_29
.LBB21_27:                              ;   Parent Loop BB21_17 Depth=1
                                        ;     Parent Loop BB21_24 Depth=2
                                        ; =>    This Inner Loop Header: Depth=3
	v_mov_b32_e32 v31, v33
	v_cmp_ne_u32_e32 vcc_lo, v32, v6
	s_or_b32 s27, s27, exec_lo
	s_or_b32 s28, s28, exec_lo
                                        ; implicit-def: $vgpr33
                                        ; implicit-def: $vgpr32
	s_and_saveexec_b32 s29, vcc_lo
	s_cbranch_execz .LBB21_26
; %bb.28:                               ;   in Loop: Header=BB21_27 Depth=3
	v_add_nc_u32_e32 v32, 1, v31
	s_andn2_b32 s28, s28, exec_lo
	s_andn2_b32 s27, s27, exec_lo
	v_and_b32_e32 v33, 0x7f, v32
	v_lshl_add_u32 v32, v33, 2, v21
	ds_read_b32 v32, v32
	s_waitcnt lgkmcnt(0)
	v_cmp_eq_u32_e32 vcc_lo, -1, v32
	s_and_b32 s30, vcc_lo, exec_lo
	s_or_b32 s28, s28, s30
	s_branch .LBB21_26
.LBB21_29:                              ;   in Loop: Header=BB21_24 Depth=2
	s_inst_prefetch 0x2
	s_or_b32 exec_lo, exec_lo, s25
	s_and_saveexec_b32 s25, s26
	s_xor_b32 s25, exec_lo, s25
	s_cbranch_execz .LBB21_22
; %bb.30:                               ;   in Loop: Header=BB21_24 Depth=2
	v_lshl_add_u32 v6, v31, 2, v0
	v_lshlrev_b64 v[33:34], 3, v[18:19]
	ds_read_b32 v31, v6
	v_add_co_u32 v33, vcc_lo, s20, v33
	v_add_co_ci_u32_e64 v34, null, s21, v34, vcc_lo
	s_waitcnt lgkmcnt(0)
	v_ashrrev_i32_e32 v32, 31, v31
	v_lshlrev_b64 v[31:32], 3, v[31:32]
	v_add_co_u32 v31, vcc_lo, s20, v31
	v_add_co_ci_u32_e64 v32, null, s21, v32, vcc_lo
	s_clause 0x1
	global_load_dwordx2 v[33:34], v[33:34], off
	global_load_dwordx2 v[31:32], v[31:32], off
	s_waitcnt vmcnt(0)
	v_fma_f64 v[16:17], v[33:34], v[31:32], v[16:17]
	s_branch .LBB21_22
.LBB21_31:                              ;   in Loop: Header=BB21_17 Depth=1
	s_or_b32 exec_lo, exec_lo, s11
.LBB21_32:                              ;   in Loop: Header=BB21_17 Depth=1
	s_or_b32 exec_lo, exec_lo, s10
	v_cmp_gt_i32_e32 vcc_lo, 32, v25
	v_cndmask_b32_e32 v6, v22, v25, vcc_lo
	v_cmp_gt_i32_e32 vcc_lo, 32, v26
	v_lshlrev_b32_e32 v6, 2, v6
	ds_bpermute_b32 v18, v6, v16
	ds_bpermute_b32 v19, v6, v17
	v_cndmask_b32_e32 v6, v22, v26, vcc_lo
	v_cmp_gt_i32_e32 vcc_lo, 32, v27
	v_lshlrev_b32_e32 v6, 2, v6
	s_waitcnt lgkmcnt(0)
	v_add_f64 v[15:16], v[16:17], v[18:19]
	ds_bpermute_b32 v17, v6, v15
	ds_bpermute_b32 v18, v6, v16
	v_cndmask_b32_e32 v6, v22, v27, vcc_lo
	v_cmp_gt_i32_e32 vcc_lo, 32, v28
	v_lshlrev_b32_e32 v6, 2, v6
	s_waitcnt lgkmcnt(0)
	v_add_f64 v[15:16], v[15:16], v[17:18]
	;; [unrolled: 7-line block ×4, first 2 shown]
	ds_bpermute_b32 v17, v6, v15
	ds_bpermute_b32 v18, v6, v16
	v_cndmask_b32_e32 v6, v22, v30, vcc_lo
	v_lshlrev_b32_e32 v6, 2, v6
	s_waitcnt lgkmcnt(0)
	v_add_f64 v[15:16], v[15:16], v[17:18]
	ds_bpermute_b32 v17, v6, v15
	ds_bpermute_b32 v18, v6, v16
	s_and_saveexec_b32 s10, s0
	s_cbranch_execz .LBB21_15
; %bb.33:                               ;   in Loop: Header=BB21_17 Depth=1
	v_div_scale_f64 v[31:32], null, v[13:14], v[13:14], 1.0
	v_div_scale_f64 v[37:38], vcc_lo, 1.0, v[13:14], 1.0
	s_waitcnt lgkmcnt(0)
	v_add_f64 v[15:16], v[15:16], v[17:18]
	v_rcp_f64_e32 v[33:34], v[31:32]
	v_add_f64 v[11:12], v[11:12], -v[15:16]
	v_fma_f64 v[35:36], -v[31:32], v[33:34], 1.0
	v_fma_f64 v[33:34], v[33:34], v[35:36], v[33:34]
	v_fma_f64 v[35:36], -v[31:32], v[33:34], 1.0
	v_fma_f64 v[33:34], v[33:34], v[35:36], v[33:34]
	v_mul_f64 v[35:36], v[37:38], v[33:34]
	v_fma_f64 v[31:32], -v[31:32], v[35:36], v[37:38]
	v_div_fmas_f64 v[31:32], v[31:32], v[33:34], v[35:36]
	v_div_fixup_f64 v[13:14], v[31:32], v[13:14], 1.0
	v_mul_f64 v[11:12], v[13:14], v[11:12]
	v_fma_f64 v[7:8], v[11:12], v[11:12], v[7:8]
	global_store_dwordx2 v[9:10], v[11:12], off
	s_branch .LBB21_15
.LBB21_34:
	s_or_b32 exec_lo, exec_lo, s6
.LBB21_35:
	s_or_b32 exec_lo, exec_lo, s3
	v_cmp_eq_u32_e32 vcc_lo, 63, v20
	v_cmp_lt_i32_e64 s0, -1, v4
	s_and_b32 s0, vcc_lo, s0
	s_and_saveexec_b32 s3, s0
	s_cbranch_execz .LBB21_46
; %bb.36:
	v_mov_b32_e32 v5, 0
	v_add_nc_u32_e32 v0, s2, v3
	v_lshlrev_b64 v[4:5], 3, v[4:5]
	v_add_co_u32 v4, s0, s20, v4
	v_add_co_ci_u32_e64 v5, null, s21, v5, s0
	s_load_dwordx2 s[0:1], s[4:5], 0x48
	global_load_dwordx2 v[9:10], v[4:5], off
	s_waitcnt lgkmcnt(0)
	v_mul_f64 v[11:12], s[0:1], s[0:1]
	s_mov_b32 s1, exec_lo
	s_waitcnt vmcnt(0)
	v_add_f64 v[6:7], v[9:10], -v[7:8]
	v_cmpx_le_f64_e32 v[6:7], v[11:12]
	s_cbranch_execz .LBB21_41
; %bb.37:
	s_mov_b32 s0, exec_lo
	s_brev_b32 s2, -2
.LBB21_38:                              ; =>This Inner Loop Header: Depth=1
	s_ff1_i32_b32 s4, s0
	v_readlane_b32 s5, v0, s4
	s_lshl_b32 s4, 1, s4
	s_andn2_b32 s0, s0, s4
	s_min_i32 s2, s2, s5
	s_cmp_lg_u32 s0, 0
	s_cbranch_scc1 .LBB21_38
; %bb.39:
	v_mbcnt_lo_u32_b32 v3, exec_lo, 0
	s_mov_b32 s4, exec_lo
	v_cmpx_eq_u32_e32 0, v3
	s_xor_b32 s4, exec_lo, s4
	s_cbranch_execz .LBB21_41
; %bb.40:
	v_mov_b32_e32 v3, 0
	v_mov_b32_e32 v8, s2
	global_atomic_smin v3, v8, s[14:15]
.LBB21_41:
	s_or_b32 exec_lo, exec_lo, s1
	v_cmp_gt_f64_e64 s0, 0, v[6:7]
	v_xor_b32_e32 v3, 0x80000000, v7
	v_mov_b32_e32 v8, v6
	v_cmp_eq_f64_e64 s1, 0, v[6:7]
	v_cndmask_b32_e64 v9, v7, v3, s0
	v_cmp_gt_f64_e64 s0, 0x10000000, v[8:9]
	v_cndmask_b32_e64 v3, 0, 0x100, s0
	v_ldexp_f64 v[8:9], v[8:9], v3
	v_cndmask_b32_e64 v3, 0, 0xffffff80, s0
	v_rsq_f64_e32 v[10:11], v[8:9]
	v_cmp_class_f64_e64 s0, v[8:9], 0x260
	v_mul_f64 v[12:13], v[8:9], v[10:11]
	v_mul_f64 v[10:11], v[10:11], 0.5
	v_fma_f64 v[14:15], -v[10:11], v[12:13], 0.5
	v_fma_f64 v[12:13], v[12:13], v[14:15], v[12:13]
	v_fma_f64 v[10:11], v[10:11], v[14:15], v[10:11]
	v_fma_f64 v[14:15], -v[12:13], v[12:13], v[8:9]
	v_fma_f64 v[12:13], v[14:15], v[10:11], v[12:13]
	v_fma_f64 v[14:15], -v[12:13], v[12:13], v[8:9]
	v_fma_f64 v[10:11], v[14:15], v[10:11], v[12:13]
	v_ldexp_f64 v[10:11], v[10:11], v3
	v_cndmask_b32_e64 v7, v11, v9, s0
	v_cndmask_b32_e64 v6, v10, v8, s0
	global_store_dwordx2 v[4:5], v[6:7], off
	s_and_b32 exec_lo, exec_lo, s1
	s_cbranch_execz .LBB21_46
; %bb.42:
	s_mov_b32 s0, exec_lo
	s_brev_b32 s1, -2
.LBB21_43:                              ; =>This Inner Loop Header: Depth=1
	s_ff1_i32_b32 s2, s0
	v_readlane_b32 s4, v0, s2
	s_lshl_b32 s2, 1, s2
	s_andn2_b32 s0, s0, s2
	s_min_i32 s1, s1, s4
	s_cmp_lg_u32 s0, 0
	s_cbranch_scc1 .LBB21_43
; %bb.44:
	v_mbcnt_lo_u32_b32 v0, exec_lo, 0
	s_mov_b32 s2, exec_lo
	v_cmpx_eq_u32_e32 0, v0
	s_xor_b32 s2, exec_lo, s2
	s_cbranch_execz .LBB21_46
; %bb.45:
	v_mov_b32_e32 v0, 0
	v_mov_b32_e32 v3, s1
	global_atomic_smin v0, v3, s[12:13]
.LBB21_46:
	s_or_b32 exec_lo, exec_lo, s3
	s_and_b32 exec_lo, exec_lo, vcc_lo
	s_cbranch_execz .LBB21_48
; %bb.47:
	v_add_co_u32 v0, vcc_lo, s8, v1
	v_add_co_ci_u32_e64 v1, null, s9, v2, vcc_lo
	v_mov_b32_e32 v2, 1
	s_waitcnt lgkmcnt(0)
	s_waitcnt_vscnt null, 0x0
	global_store_dword v[0:1], v2, off
.LBB21_48:
	s_endpgm
	.section	.rodata,"a",@progbits
	.p2align	6, 0x0
	.amdhsa_kernel _ZN9rocsparseL18csric0_hash_kernelILj256ELj64ELj2EdEEviPKiS2_PT2_S2_PiS2_S5_S5_d21rocsparse_index_base_
		.amdhsa_group_segment_fixed_size 4096
		.amdhsa_private_segment_fixed_size 0
		.amdhsa_kernarg_size 84
		.amdhsa_user_sgpr_count 6
		.amdhsa_user_sgpr_private_segment_buffer 1
		.amdhsa_user_sgpr_dispatch_ptr 0
		.amdhsa_user_sgpr_queue_ptr 0
		.amdhsa_user_sgpr_kernarg_segment_ptr 1
		.amdhsa_user_sgpr_dispatch_id 0
		.amdhsa_user_sgpr_flat_scratch_init 0
		.amdhsa_user_sgpr_private_segment_size 0
		.amdhsa_wavefront_size32 1
		.amdhsa_uses_dynamic_stack 0
		.amdhsa_system_sgpr_private_segment_wavefront_offset 0
		.amdhsa_system_sgpr_workgroup_id_x 1
		.amdhsa_system_sgpr_workgroup_id_y 0
		.amdhsa_system_sgpr_workgroup_id_z 0
		.amdhsa_system_sgpr_workgroup_info 0
		.amdhsa_system_vgpr_workitem_id 0
		.amdhsa_next_free_vgpr 39
		.amdhsa_next_free_sgpr 31
		.amdhsa_reserve_vcc 1
		.amdhsa_reserve_flat_scratch 0
		.amdhsa_float_round_mode_32 0
		.amdhsa_float_round_mode_16_64 0
		.amdhsa_float_denorm_mode_32 3
		.amdhsa_float_denorm_mode_16_64 3
		.amdhsa_dx10_clamp 1
		.amdhsa_ieee_mode 1
		.amdhsa_fp16_overflow 0
		.amdhsa_workgroup_processor_mode 1
		.amdhsa_memory_ordered 1
		.amdhsa_forward_progress 1
		.amdhsa_shared_vgpr_count 0
		.amdhsa_exception_fp_ieee_invalid_op 0
		.amdhsa_exception_fp_denorm_src 0
		.amdhsa_exception_fp_ieee_div_zero 0
		.amdhsa_exception_fp_ieee_overflow 0
		.amdhsa_exception_fp_ieee_underflow 0
		.amdhsa_exception_fp_ieee_inexact 0
		.amdhsa_exception_int_div_zero 0
	.end_amdhsa_kernel
	.section	.text._ZN9rocsparseL18csric0_hash_kernelILj256ELj64ELj2EdEEviPKiS2_PT2_S2_PiS2_S5_S5_d21rocsparse_index_base_,"axG",@progbits,_ZN9rocsparseL18csric0_hash_kernelILj256ELj64ELj2EdEEviPKiS2_PT2_S2_PiS2_S5_S5_d21rocsparse_index_base_,comdat
.Lfunc_end21:
	.size	_ZN9rocsparseL18csric0_hash_kernelILj256ELj64ELj2EdEEviPKiS2_PT2_S2_PiS2_S5_S5_d21rocsparse_index_base_, .Lfunc_end21-_ZN9rocsparseL18csric0_hash_kernelILj256ELj64ELj2EdEEviPKiS2_PT2_S2_PiS2_S5_S5_d21rocsparse_index_base_
                                        ; -- End function
	.set _ZN9rocsparseL18csric0_hash_kernelILj256ELj64ELj2EdEEviPKiS2_PT2_S2_PiS2_S5_S5_d21rocsparse_index_base_.num_vgpr, 39
	.set _ZN9rocsparseL18csric0_hash_kernelILj256ELj64ELj2EdEEviPKiS2_PT2_S2_PiS2_S5_S5_d21rocsparse_index_base_.num_agpr, 0
	.set _ZN9rocsparseL18csric0_hash_kernelILj256ELj64ELj2EdEEviPKiS2_PT2_S2_PiS2_S5_S5_d21rocsparse_index_base_.numbered_sgpr, 31
	.set _ZN9rocsparseL18csric0_hash_kernelILj256ELj64ELj2EdEEviPKiS2_PT2_S2_PiS2_S5_S5_d21rocsparse_index_base_.num_named_barrier, 0
	.set _ZN9rocsparseL18csric0_hash_kernelILj256ELj64ELj2EdEEviPKiS2_PT2_S2_PiS2_S5_S5_d21rocsparse_index_base_.private_seg_size, 0
	.set _ZN9rocsparseL18csric0_hash_kernelILj256ELj64ELj2EdEEviPKiS2_PT2_S2_PiS2_S5_S5_d21rocsparse_index_base_.uses_vcc, 1
	.set _ZN9rocsparseL18csric0_hash_kernelILj256ELj64ELj2EdEEviPKiS2_PT2_S2_PiS2_S5_S5_d21rocsparse_index_base_.uses_flat_scratch, 0
	.set _ZN9rocsparseL18csric0_hash_kernelILj256ELj64ELj2EdEEviPKiS2_PT2_S2_PiS2_S5_S5_d21rocsparse_index_base_.has_dyn_sized_stack, 0
	.set _ZN9rocsparseL18csric0_hash_kernelILj256ELj64ELj2EdEEviPKiS2_PT2_S2_PiS2_S5_S5_d21rocsparse_index_base_.has_recursion, 0
	.set _ZN9rocsparseL18csric0_hash_kernelILj256ELj64ELj2EdEEviPKiS2_PT2_S2_PiS2_S5_S5_d21rocsparse_index_base_.has_indirect_call, 0
	.section	.AMDGPU.csdata,"",@progbits
; Kernel info:
; codeLenInByte = 2372
; TotalNumSgprs: 33
; NumVgprs: 39
; ScratchSize: 0
; MemoryBound: 0
; FloatMode: 240
; IeeeMode: 1
; LDSByteSize: 4096 bytes/workgroup (compile time only)
; SGPRBlocks: 0
; VGPRBlocks: 4
; NumSGPRsForWavesPerEU: 33
; NumVGPRsForWavesPerEU: 39
; Occupancy: 16
; WaveLimiterHint : 1
; COMPUTE_PGM_RSRC2:SCRATCH_EN: 0
; COMPUTE_PGM_RSRC2:USER_SGPR: 6
; COMPUTE_PGM_RSRC2:TRAP_HANDLER: 0
; COMPUTE_PGM_RSRC2:TGID_X_EN: 1
; COMPUTE_PGM_RSRC2:TGID_Y_EN: 0
; COMPUTE_PGM_RSRC2:TGID_Z_EN: 0
; COMPUTE_PGM_RSRC2:TIDIG_COMP_CNT: 0
	.section	.text._ZN9rocsparseL18csric0_hash_kernelILj256ELj64ELj4EdEEviPKiS2_PT2_S2_PiS2_S5_S5_d21rocsparse_index_base_,"axG",@progbits,_ZN9rocsparseL18csric0_hash_kernelILj256ELj64ELj4EdEEviPKiS2_PT2_S2_PiS2_S5_S5_d21rocsparse_index_base_,comdat
	.globl	_ZN9rocsparseL18csric0_hash_kernelILj256ELj64ELj4EdEEviPKiS2_PT2_S2_PiS2_S5_S5_d21rocsparse_index_base_ ; -- Begin function _ZN9rocsparseL18csric0_hash_kernelILj256ELj64ELj4EdEEviPKiS2_PT2_S2_PiS2_S5_S5_d21rocsparse_index_base_
	.p2align	8
	.type	_ZN9rocsparseL18csric0_hash_kernelILj256ELj64ELj4EdEEviPKiS2_PT2_S2_PiS2_S5_S5_d21rocsparse_index_base_,@function
_ZN9rocsparseL18csric0_hash_kernelILj256ELj64ELj4EdEEviPKiS2_PT2_S2_PiS2_S5_S5_d21rocsparse_index_base_: ; @_ZN9rocsparseL18csric0_hash_kernelILj256ELj64ELj4EdEEviPKiS2_PT2_S2_PiS2_S5_S5_d21rocsparse_index_base_
; %bb.0:
	s_clause 0x1
	s_load_dwordx8 s[16:23], s[4:5], 0x8
	s_load_dwordx8 s[8:15], s[4:5], 0x28
	v_lshrrev_b32_e32 v1, 6, v0
	v_and_b32_e32 v20, 63, v0
	s_mov_b32 s0, 0
	v_lshlrev_b32_e32 v3, 10, v1
	v_lshlrev_b32_e32 v4, 2, v20
	v_or_b32_e32 v2, 0xffffffc0, v20
	v_or3_b32 v3, v3, v4, 0x1000
	v_mov_b32_e32 v4, -1
.LBB22_1:                               ; =>This Inner Loop Header: Depth=1
	v_add_nc_u32_e32 v2, 64, v2
	ds_write_b32 v3, v4
	v_add_nc_u32_e32 v3, 0x100, v3
	v_cmp_lt_u32_e32 vcc_lo, 0xbf, v2
	s_or_b32 s0, vcc_lo, s0
	s_andn2_b32 exec_lo, exec_lo, s0
	s_cbranch_execnz .LBB22_1
; %bb.2:
	s_or_b32 exec_lo, exec_lo, s0
	s_load_dword s0, s[4:5], 0x0
	s_lshl_b32 s1, s6, 2
	s_waitcnt lgkmcnt(0)
	buffer_gl0_inv
	v_and_or_b32 v1, 0x3fffffc, s1, v1
	v_cmp_gt_i32_e32 vcc_lo, s0, v1
	s_and_saveexec_b32 s0, vcc_lo
	s_cbranch_execz .LBB22_48
; %bb.3:
	v_lshlrev_b32_e32 v1, 2, v1
	s_load_dword s2, s[4:5], 0x50
	v_lshlrev_b32_e32 v0, 4, v0
	s_mov_b32 s0, exec_lo
	global_load_dword v3, v1, s[10:11]
	v_and_b32_e32 v0, 0xc00, v0
	v_or_b32_e32 v21, 0x1000, v0
	s_waitcnt vmcnt(0)
	v_ashrrev_i32_e32 v4, 31, v3
	v_lshlrev_b64 v[1:2], 2, v[3:4]
	v_add_co_u32 v4, vcc_lo, s16, v1
	v_add_co_ci_u32_e64 v5, null, s17, v2, vcc_lo
	v_add_co_u32 v7, vcc_lo, s22, v1
	v_add_co_ci_u32_e64 v8, null, s23, v2, vcc_lo
	global_load_dwordx2 v[5:6], v[4:5], off
	global_load_dword v4, v[7:8], off
	s_waitcnt vmcnt(1) lgkmcnt(0)
	v_subrev_nc_u32_e32 v5, s2, v5
	v_subrev_nc_u32_e32 v8, s2, v6
	v_add_nc_u32_e32 v6, v5, v20
	v_cmpx_lt_i32_e64 v6, v8
	s_cbranch_execz .LBB22_13
; %bb.4:
	v_mov_b32_e32 v9, -1
	s_mov_b32 s1, 0
	s_branch .LBB22_6
.LBB22_5:                               ;   in Loop: Header=BB22_6 Depth=1
	s_or_b32 exec_lo, exec_lo, s3
	v_add_nc_u32_e32 v6, 64, v6
	v_cmp_ge_i32_e32 vcc_lo, v6, v8
	s_or_b32 s1, vcc_lo, s1
	s_andn2_b32 exec_lo, exec_lo, s1
	s_cbranch_execz .LBB22_13
.LBB22_6:                               ; =>This Loop Header: Depth=1
                                        ;     Child Loop BB22_9 Depth 2
	v_ashrrev_i32_e32 v7, 31, v6
	s_mov_b32 s3, exec_lo
	v_lshlrev_b64 v[10:11], 2, v[6:7]
	v_add_co_u32 v10, vcc_lo, s18, v10
	v_add_co_ci_u32_e64 v11, null, s19, v11, vcc_lo
	global_load_dword v7, v[10:11], off
	s_waitcnt vmcnt(0)
	v_mul_lo_u32 v10, 0x67, v7
	v_and_b32_e32 v10, 0xff, v10
	v_lshl_add_u32 v11, v10, 2, v21
	ds_read_b32 v12, v11
	s_waitcnt lgkmcnt(0)
	v_cmpx_ne_u32_e64 v12, v7
	s_cbranch_execz .LBB22_5
; %bb.7:                                ;   in Loop: Header=BB22_6 Depth=1
	s_mov_b32 s6, 0
                                        ; implicit-def: $sgpr7
                                        ; implicit-def: $sgpr11
                                        ; implicit-def: $sgpr10
	s_inst_prefetch 0x1
	s_branch .LBB22_9
	.p2align	6
.LBB22_8:                               ;   in Loop: Header=BB22_9 Depth=2
	s_or_b32 exec_lo, exec_lo, s24
	s_and_b32 s24, exec_lo, s11
	s_or_b32 s6, s24, s6
	s_andn2_b32 s7, s7, exec_lo
	s_and_b32 s24, s10, exec_lo
	s_or_b32 s7, s7, s24
	s_andn2_b32 exec_lo, exec_lo, s6
	s_cbranch_execz .LBB22_11
.LBB22_9:                               ;   Parent Loop BB22_6 Depth=1
                                        ; =>  This Inner Loop Header: Depth=2
	ds_cmpst_rtn_b32 v11, v11, v9, v7
	v_mov_b32_e32 v12, v10
	s_or_b32 s10, s10, exec_lo
	s_or_b32 s11, s11, exec_lo
                                        ; implicit-def: $vgpr10
	s_waitcnt lgkmcnt(0)
	v_cmp_ne_u32_e32 vcc_lo, -1, v11
                                        ; implicit-def: $vgpr11
	s_and_saveexec_b32 s24, vcc_lo
	s_cbranch_execz .LBB22_8
; %bb.10:                               ;   in Loop: Header=BB22_9 Depth=2
	v_add_nc_u32_e32 v10, 1, v12
	s_andn2_b32 s11, s11, exec_lo
	s_andn2_b32 s10, s10, exec_lo
	v_and_b32_e32 v10, 0xff, v10
	v_lshl_add_u32 v11, v10, 2, v21
	ds_read_b32 v13, v11
	s_waitcnt lgkmcnt(0)
	v_cmp_eq_u32_e32 vcc_lo, v13, v7
	s_and_b32 s25, vcc_lo, exec_lo
	s_or_b32 s11, s11, s25
	s_branch .LBB22_8
.LBB22_11:                              ;   in Loop: Header=BB22_6 Depth=1
	s_inst_prefetch 0x2
	s_or_b32 exec_lo, exec_lo, s6
	s_and_saveexec_b32 s6, s7
	s_xor_b32 s6, exec_lo, s6
	s_cbranch_execz .LBB22_5
; %bb.12:                               ;   in Loop: Header=BB22_6 Depth=1
	v_lshl_add_u32 v7, v12, 2, v0
	ds_write_b32 v7, v6
	s_branch .LBB22_5
.LBB22_13:
	s_or_b32 exec_lo, exec_lo, s0
	v_mov_b32_e32 v7, 0
	v_mov_b32_e32 v8, 0
	s_mov_b32 s3, exec_lo
	s_waitcnt vmcnt(0) lgkmcnt(0)
	buffer_gl0_inv
	v_cmpx_lt_i32_e64 v5, v4
	s_cbranch_execz .LBB22_35
; %bb.14:
	v_mbcnt_lo_u32_b32 v22, -1, 0
	v_mov_b32_e32 v7, 0
	v_add_nc_u32_e32 v23, -1, v4
	v_subrev_nc_u32_e32 v24, s2, v20
	v_cmp_eq_u32_e64 s0, 63, v20
	v_mov_b32_e32 v8, 0
	v_or_b32_e32 v25, 32, v22
	v_xor_b32_e32 v26, 16, v22
	v_xor_b32_e32 v27, 8, v22
	;; [unrolled: 1-line block ×5, first 2 shown]
	s_mov_b32 s6, 0
	s_branch .LBB22_17
.LBB22_15:                              ;   in Loop: Header=BB22_17 Depth=1
	s_or_b32 exec_lo, exec_lo, s10
.LBB22_16:                              ;   in Loop: Header=BB22_17 Depth=1
	s_or_b32 exec_lo, exec_lo, s7
	v_add_nc_u32_e32 v5, 1, v5
	s_xor_b32 s1, s1, -1
	v_cmp_ge_i32_e32 vcc_lo, v5, v4
	s_or_b32 s1, s1, vcc_lo
	s_and_b32 s1, exec_lo, s1
	s_or_b32 s6, s1, s6
	s_andn2_b32 exec_lo, exec_lo, s6
	s_cbranch_execz .LBB22_34
.LBB22_17:                              ; =>This Loop Header: Depth=1
                                        ;     Child Loop BB22_18 Depth 2
                                        ;     Child Loop BB22_24 Depth 2
                                        ;       Child Loop BB22_27 Depth 3
	v_ashrrev_i32_e32 v6, 31, v5
	s_mov_b32 s1, 0
	v_lshlrev_b64 v[9:10], 2, v[5:6]
	v_lshlrev_b64 v[11:12], 3, v[5:6]
	v_add_co_u32 v9, vcc_lo, s18, v9
	v_add_co_ci_u32_e64 v10, null, s19, v10, vcc_lo
	global_load_dword v9, v[9:10], off
	s_waitcnt vmcnt(0)
	v_subrev_nc_u32_e32 v9, s2, v9
	v_ashrrev_i32_e32 v10, 31, v9
	v_lshlrev_b64 v[13:14], 2, v[9:10]
	v_add_co_u32 v9, vcc_lo, s20, v11
	v_add_co_ci_u32_e64 v10, null, s21, v12, vcc_lo
	v_add_co_u32 v15, vcc_lo, s16, v13
	v_add_co_ci_u32_e64 v16, null, s17, v14, vcc_lo
	s_waitcnt lgkmcnt(1)
	v_add_co_u32 v17, vcc_lo, s22, v13
	s_waitcnt lgkmcnt(0)
	v_add_co_ci_u32_e64 v18, null, s23, v14, vcc_lo
	global_load_dwordx2 v[11:12], v[9:10], off
	global_load_dword v6, v[15:16], off
	global_load_dword v15, v[17:18], off
	v_add_co_u32 v13, vcc_lo, s8, v13
	v_add_co_ci_u32_e64 v14, null, s9, v14, vcc_lo
.LBB22_18:                              ;   Parent Loop BB22_17 Depth=1
                                        ; =>  This Inner Loop Header: Depth=2
	global_load_dword v16, v[13:14], off glc dlc
	s_waitcnt vmcnt(0)
	v_cmp_ne_u32_e32 vcc_lo, 0, v16
	s_or_b32 s1, vcc_lo, s1
	s_andn2_b32 exec_lo, exec_lo, s1
	s_cbranch_execnz .LBB22_18
; %bb.19:                               ;   in Loop: Header=BB22_17 Depth=1
	s_or_b32 exec_lo, exec_lo, s1
	v_cmp_eq_u32_e32 vcc_lo, -1, v15
	buffer_gl1_inv
	buffer_gl0_inv
	v_cndmask_b32_e32 v15, v15, v23, vcc_lo
	v_ashrrev_i32_e32 v16, 31, v15
	v_lshlrev_b64 v[13:14], 3, v[15:16]
	v_add_co_u32 v13, vcc_lo, s20, v13
	v_add_co_ci_u32_e64 v14, null, s21, v14, vcc_lo
	global_load_dwordx2 v[13:14], v[13:14], off
	s_waitcnt vmcnt(0)
	v_cmp_neq_f64_e64 s1, 0, v[13:14]
	s_and_saveexec_b32 s7, s1
	s_cbranch_execz .LBB22_16
; %bb.20:                               ;   in Loop: Header=BB22_17 Depth=1
	v_mov_b32_e32 v16, 0
	v_add_nc_u32_e32 v18, v24, v6
	v_mov_b32_e32 v17, 0
	s_mov_b32 s10, exec_lo
	v_cmpx_lt_i32_e64 v18, v15
	s_cbranch_execz .LBB22_32
; %bb.21:                               ;   in Loop: Header=BB22_17 Depth=1
	v_mov_b32_e32 v16, 0
	v_mov_b32_e32 v17, 0
	s_mov_b32 s11, 0
	s_branch .LBB22_24
.LBB22_22:                              ;   in Loop: Header=BB22_24 Depth=2
	s_or_b32 exec_lo, exec_lo, s25
.LBB22_23:                              ;   in Loop: Header=BB22_24 Depth=2
	s_or_b32 exec_lo, exec_lo, s24
	v_add_nc_u32_e32 v18, 64, v18
	v_cmp_ge_i32_e32 vcc_lo, v18, v15
	s_or_b32 s11, vcc_lo, s11
	s_andn2_b32 exec_lo, exec_lo, s11
	s_cbranch_execz .LBB22_31
.LBB22_24:                              ;   Parent Loop BB22_17 Depth=1
                                        ; =>  This Loop Header: Depth=2
                                        ;       Child Loop BB22_27 Depth 3
	v_ashrrev_i32_e32 v19, 31, v18
	s_mov_b32 s24, exec_lo
	v_lshlrev_b64 v[31:32], 2, v[18:19]
	v_add_co_u32 v31, vcc_lo, s18, v31
	v_add_co_ci_u32_e64 v32, null, s19, v32, vcc_lo
	global_load_dword v6, v[31:32], off
	s_waitcnt vmcnt(0)
	v_mul_lo_u32 v31, 0x67, v6
	v_and_b32_e32 v33, 0xff, v31
	v_lshl_add_u32 v31, v33, 2, v21
	ds_read_b32 v32, v31
	s_waitcnt lgkmcnt(0)
	v_cmpx_ne_u32_e32 -1, v32
	s_cbranch_execz .LBB22_23
; %bb.25:                               ;   in Loop: Header=BB22_24 Depth=2
	s_mov_b32 s25, 0
                                        ; implicit-def: $sgpr26
                                        ; implicit-def: $sgpr28
                                        ; implicit-def: $sgpr27
	s_inst_prefetch 0x1
	s_branch .LBB22_27
	.p2align	6
.LBB22_26:                              ;   in Loop: Header=BB22_27 Depth=3
	s_or_b32 exec_lo, exec_lo, s29
	s_and_b32 s29, exec_lo, s28
	s_or_b32 s25, s29, s25
	s_andn2_b32 s26, s26, exec_lo
	s_and_b32 s29, s27, exec_lo
	s_or_b32 s26, s26, s29
	s_andn2_b32 exec_lo, exec_lo, s25
	s_cbranch_execz .LBB22_29
.LBB22_27:                              ;   Parent Loop BB22_17 Depth=1
                                        ;     Parent Loop BB22_24 Depth=2
                                        ; =>    This Inner Loop Header: Depth=3
	v_mov_b32_e32 v31, v33
	v_cmp_ne_u32_e32 vcc_lo, v32, v6
	s_or_b32 s27, s27, exec_lo
	s_or_b32 s28, s28, exec_lo
                                        ; implicit-def: $vgpr33
                                        ; implicit-def: $vgpr32
	s_and_saveexec_b32 s29, vcc_lo
	s_cbranch_execz .LBB22_26
; %bb.28:                               ;   in Loop: Header=BB22_27 Depth=3
	v_add_nc_u32_e32 v32, 1, v31
	s_andn2_b32 s28, s28, exec_lo
	s_andn2_b32 s27, s27, exec_lo
	v_and_b32_e32 v33, 0xff, v32
	v_lshl_add_u32 v32, v33, 2, v21
	ds_read_b32 v32, v32
	s_waitcnt lgkmcnt(0)
	v_cmp_eq_u32_e32 vcc_lo, -1, v32
	s_and_b32 s30, vcc_lo, exec_lo
	s_or_b32 s28, s28, s30
	s_branch .LBB22_26
.LBB22_29:                              ;   in Loop: Header=BB22_24 Depth=2
	s_inst_prefetch 0x2
	s_or_b32 exec_lo, exec_lo, s25
	s_and_saveexec_b32 s25, s26
	s_xor_b32 s25, exec_lo, s25
	s_cbranch_execz .LBB22_22
; %bb.30:                               ;   in Loop: Header=BB22_24 Depth=2
	v_lshl_add_u32 v6, v31, 2, v0
	v_lshlrev_b64 v[33:34], 3, v[18:19]
	ds_read_b32 v31, v6
	v_add_co_u32 v33, vcc_lo, s20, v33
	v_add_co_ci_u32_e64 v34, null, s21, v34, vcc_lo
	s_waitcnt lgkmcnt(0)
	v_ashrrev_i32_e32 v32, 31, v31
	v_lshlrev_b64 v[31:32], 3, v[31:32]
	v_add_co_u32 v31, vcc_lo, s20, v31
	v_add_co_ci_u32_e64 v32, null, s21, v32, vcc_lo
	s_clause 0x1
	global_load_dwordx2 v[33:34], v[33:34], off
	global_load_dwordx2 v[31:32], v[31:32], off
	s_waitcnt vmcnt(0)
	v_fma_f64 v[16:17], v[33:34], v[31:32], v[16:17]
	s_branch .LBB22_22
.LBB22_31:                              ;   in Loop: Header=BB22_17 Depth=1
	s_or_b32 exec_lo, exec_lo, s11
.LBB22_32:                              ;   in Loop: Header=BB22_17 Depth=1
	s_or_b32 exec_lo, exec_lo, s10
	v_cmp_gt_i32_e32 vcc_lo, 32, v25
	v_cndmask_b32_e32 v6, v22, v25, vcc_lo
	v_cmp_gt_i32_e32 vcc_lo, 32, v26
	v_lshlrev_b32_e32 v6, 2, v6
	ds_bpermute_b32 v18, v6, v16
	ds_bpermute_b32 v19, v6, v17
	v_cndmask_b32_e32 v6, v22, v26, vcc_lo
	v_cmp_gt_i32_e32 vcc_lo, 32, v27
	v_lshlrev_b32_e32 v6, 2, v6
	s_waitcnt lgkmcnt(0)
	v_add_f64 v[15:16], v[16:17], v[18:19]
	ds_bpermute_b32 v17, v6, v15
	ds_bpermute_b32 v18, v6, v16
	v_cndmask_b32_e32 v6, v22, v27, vcc_lo
	v_cmp_gt_i32_e32 vcc_lo, 32, v28
	v_lshlrev_b32_e32 v6, 2, v6
	s_waitcnt lgkmcnt(0)
	v_add_f64 v[15:16], v[15:16], v[17:18]
	;; [unrolled: 7-line block ×4, first 2 shown]
	ds_bpermute_b32 v17, v6, v15
	ds_bpermute_b32 v18, v6, v16
	v_cndmask_b32_e32 v6, v22, v30, vcc_lo
	v_lshlrev_b32_e32 v6, 2, v6
	s_waitcnt lgkmcnt(0)
	v_add_f64 v[15:16], v[15:16], v[17:18]
	ds_bpermute_b32 v17, v6, v15
	ds_bpermute_b32 v18, v6, v16
	s_and_saveexec_b32 s10, s0
	s_cbranch_execz .LBB22_15
; %bb.33:                               ;   in Loop: Header=BB22_17 Depth=1
	v_div_scale_f64 v[31:32], null, v[13:14], v[13:14], 1.0
	v_div_scale_f64 v[37:38], vcc_lo, 1.0, v[13:14], 1.0
	s_waitcnt lgkmcnt(0)
	v_add_f64 v[15:16], v[15:16], v[17:18]
	v_rcp_f64_e32 v[33:34], v[31:32]
	v_add_f64 v[11:12], v[11:12], -v[15:16]
	v_fma_f64 v[35:36], -v[31:32], v[33:34], 1.0
	v_fma_f64 v[33:34], v[33:34], v[35:36], v[33:34]
	v_fma_f64 v[35:36], -v[31:32], v[33:34], 1.0
	v_fma_f64 v[33:34], v[33:34], v[35:36], v[33:34]
	v_mul_f64 v[35:36], v[37:38], v[33:34]
	v_fma_f64 v[31:32], -v[31:32], v[35:36], v[37:38]
	v_div_fmas_f64 v[31:32], v[31:32], v[33:34], v[35:36]
	v_div_fixup_f64 v[13:14], v[31:32], v[13:14], 1.0
	v_mul_f64 v[11:12], v[13:14], v[11:12]
	v_fma_f64 v[7:8], v[11:12], v[11:12], v[7:8]
	global_store_dwordx2 v[9:10], v[11:12], off
	s_branch .LBB22_15
.LBB22_34:
	s_or_b32 exec_lo, exec_lo, s6
.LBB22_35:
	s_or_b32 exec_lo, exec_lo, s3
	v_cmp_eq_u32_e32 vcc_lo, 63, v20
	v_cmp_lt_i32_e64 s0, -1, v4
	s_and_b32 s0, vcc_lo, s0
	s_and_saveexec_b32 s3, s0
	s_cbranch_execz .LBB22_46
; %bb.36:
	v_mov_b32_e32 v5, 0
	v_add_nc_u32_e32 v0, s2, v3
	v_lshlrev_b64 v[4:5], 3, v[4:5]
	v_add_co_u32 v4, s0, s20, v4
	v_add_co_ci_u32_e64 v5, null, s21, v5, s0
	s_load_dwordx2 s[0:1], s[4:5], 0x48
	global_load_dwordx2 v[9:10], v[4:5], off
	s_waitcnt lgkmcnt(0)
	v_mul_f64 v[11:12], s[0:1], s[0:1]
	s_mov_b32 s1, exec_lo
	s_waitcnt vmcnt(0)
	v_add_f64 v[6:7], v[9:10], -v[7:8]
	v_cmpx_le_f64_e32 v[6:7], v[11:12]
	s_cbranch_execz .LBB22_41
; %bb.37:
	s_mov_b32 s0, exec_lo
	s_brev_b32 s2, -2
.LBB22_38:                              ; =>This Inner Loop Header: Depth=1
	s_ff1_i32_b32 s4, s0
	v_readlane_b32 s5, v0, s4
	s_lshl_b32 s4, 1, s4
	s_andn2_b32 s0, s0, s4
	s_min_i32 s2, s2, s5
	s_cmp_lg_u32 s0, 0
	s_cbranch_scc1 .LBB22_38
; %bb.39:
	v_mbcnt_lo_u32_b32 v3, exec_lo, 0
	s_mov_b32 s4, exec_lo
	v_cmpx_eq_u32_e32 0, v3
	s_xor_b32 s4, exec_lo, s4
	s_cbranch_execz .LBB22_41
; %bb.40:
	v_mov_b32_e32 v3, 0
	v_mov_b32_e32 v8, s2
	global_atomic_smin v3, v8, s[14:15]
.LBB22_41:
	s_or_b32 exec_lo, exec_lo, s1
	v_cmp_gt_f64_e64 s0, 0, v[6:7]
	v_xor_b32_e32 v3, 0x80000000, v7
	v_mov_b32_e32 v8, v6
	v_cmp_eq_f64_e64 s1, 0, v[6:7]
	v_cndmask_b32_e64 v9, v7, v3, s0
	v_cmp_gt_f64_e64 s0, 0x10000000, v[8:9]
	v_cndmask_b32_e64 v3, 0, 0x100, s0
	v_ldexp_f64 v[8:9], v[8:9], v3
	v_cndmask_b32_e64 v3, 0, 0xffffff80, s0
	v_rsq_f64_e32 v[10:11], v[8:9]
	v_cmp_class_f64_e64 s0, v[8:9], 0x260
	v_mul_f64 v[12:13], v[8:9], v[10:11]
	v_mul_f64 v[10:11], v[10:11], 0.5
	v_fma_f64 v[14:15], -v[10:11], v[12:13], 0.5
	v_fma_f64 v[12:13], v[12:13], v[14:15], v[12:13]
	v_fma_f64 v[10:11], v[10:11], v[14:15], v[10:11]
	v_fma_f64 v[14:15], -v[12:13], v[12:13], v[8:9]
	v_fma_f64 v[12:13], v[14:15], v[10:11], v[12:13]
	v_fma_f64 v[14:15], -v[12:13], v[12:13], v[8:9]
	v_fma_f64 v[10:11], v[14:15], v[10:11], v[12:13]
	v_ldexp_f64 v[10:11], v[10:11], v3
	v_cndmask_b32_e64 v7, v11, v9, s0
	v_cndmask_b32_e64 v6, v10, v8, s0
	global_store_dwordx2 v[4:5], v[6:7], off
	s_and_b32 exec_lo, exec_lo, s1
	s_cbranch_execz .LBB22_46
; %bb.42:
	s_mov_b32 s0, exec_lo
	s_brev_b32 s1, -2
.LBB22_43:                              ; =>This Inner Loop Header: Depth=1
	s_ff1_i32_b32 s2, s0
	v_readlane_b32 s4, v0, s2
	s_lshl_b32 s2, 1, s2
	s_andn2_b32 s0, s0, s2
	s_min_i32 s1, s1, s4
	s_cmp_lg_u32 s0, 0
	s_cbranch_scc1 .LBB22_43
; %bb.44:
	v_mbcnt_lo_u32_b32 v0, exec_lo, 0
	s_mov_b32 s2, exec_lo
	v_cmpx_eq_u32_e32 0, v0
	s_xor_b32 s2, exec_lo, s2
	s_cbranch_execz .LBB22_46
; %bb.45:
	v_mov_b32_e32 v0, 0
	v_mov_b32_e32 v3, s1
	global_atomic_smin v0, v3, s[12:13]
.LBB22_46:
	s_or_b32 exec_lo, exec_lo, s3
	s_and_b32 exec_lo, exec_lo, vcc_lo
	s_cbranch_execz .LBB22_48
; %bb.47:
	v_add_co_u32 v0, vcc_lo, s8, v1
	v_add_co_ci_u32_e64 v1, null, s9, v2, vcc_lo
	v_mov_b32_e32 v2, 1
	s_waitcnt lgkmcnt(0)
	s_waitcnt_vscnt null, 0x0
	global_store_dword v[0:1], v2, off
.LBB22_48:
	s_endpgm
	.section	.rodata,"a",@progbits
	.p2align	6, 0x0
	.amdhsa_kernel _ZN9rocsparseL18csric0_hash_kernelILj256ELj64ELj4EdEEviPKiS2_PT2_S2_PiS2_S5_S5_d21rocsparse_index_base_
		.amdhsa_group_segment_fixed_size 8192
		.amdhsa_private_segment_fixed_size 0
		.amdhsa_kernarg_size 84
		.amdhsa_user_sgpr_count 6
		.amdhsa_user_sgpr_private_segment_buffer 1
		.amdhsa_user_sgpr_dispatch_ptr 0
		.amdhsa_user_sgpr_queue_ptr 0
		.amdhsa_user_sgpr_kernarg_segment_ptr 1
		.amdhsa_user_sgpr_dispatch_id 0
		.amdhsa_user_sgpr_flat_scratch_init 0
		.amdhsa_user_sgpr_private_segment_size 0
		.amdhsa_wavefront_size32 1
		.amdhsa_uses_dynamic_stack 0
		.amdhsa_system_sgpr_private_segment_wavefront_offset 0
		.amdhsa_system_sgpr_workgroup_id_x 1
		.amdhsa_system_sgpr_workgroup_id_y 0
		.amdhsa_system_sgpr_workgroup_id_z 0
		.amdhsa_system_sgpr_workgroup_info 0
		.amdhsa_system_vgpr_workitem_id 0
		.amdhsa_next_free_vgpr 39
		.amdhsa_next_free_sgpr 31
		.amdhsa_reserve_vcc 1
		.amdhsa_reserve_flat_scratch 0
		.amdhsa_float_round_mode_32 0
		.amdhsa_float_round_mode_16_64 0
		.amdhsa_float_denorm_mode_32 3
		.amdhsa_float_denorm_mode_16_64 3
		.amdhsa_dx10_clamp 1
		.amdhsa_ieee_mode 1
		.amdhsa_fp16_overflow 0
		.amdhsa_workgroup_processor_mode 1
		.amdhsa_memory_ordered 1
		.amdhsa_forward_progress 1
		.amdhsa_shared_vgpr_count 0
		.amdhsa_exception_fp_ieee_invalid_op 0
		.amdhsa_exception_fp_denorm_src 0
		.amdhsa_exception_fp_ieee_div_zero 0
		.amdhsa_exception_fp_ieee_overflow 0
		.amdhsa_exception_fp_ieee_underflow 0
		.amdhsa_exception_fp_ieee_inexact 0
		.amdhsa_exception_int_div_zero 0
	.end_amdhsa_kernel
	.section	.text._ZN9rocsparseL18csric0_hash_kernelILj256ELj64ELj4EdEEviPKiS2_PT2_S2_PiS2_S5_S5_d21rocsparse_index_base_,"axG",@progbits,_ZN9rocsparseL18csric0_hash_kernelILj256ELj64ELj4EdEEviPKiS2_PT2_S2_PiS2_S5_S5_d21rocsparse_index_base_,comdat
.Lfunc_end22:
	.size	_ZN9rocsparseL18csric0_hash_kernelILj256ELj64ELj4EdEEviPKiS2_PT2_S2_PiS2_S5_S5_d21rocsparse_index_base_, .Lfunc_end22-_ZN9rocsparseL18csric0_hash_kernelILj256ELj64ELj4EdEEviPKiS2_PT2_S2_PiS2_S5_S5_d21rocsparse_index_base_
                                        ; -- End function
	.set _ZN9rocsparseL18csric0_hash_kernelILj256ELj64ELj4EdEEviPKiS2_PT2_S2_PiS2_S5_S5_d21rocsparse_index_base_.num_vgpr, 39
	.set _ZN9rocsparseL18csric0_hash_kernelILj256ELj64ELj4EdEEviPKiS2_PT2_S2_PiS2_S5_S5_d21rocsparse_index_base_.num_agpr, 0
	.set _ZN9rocsparseL18csric0_hash_kernelILj256ELj64ELj4EdEEviPKiS2_PT2_S2_PiS2_S5_S5_d21rocsparse_index_base_.numbered_sgpr, 31
	.set _ZN9rocsparseL18csric0_hash_kernelILj256ELj64ELj4EdEEviPKiS2_PT2_S2_PiS2_S5_S5_d21rocsparse_index_base_.num_named_barrier, 0
	.set _ZN9rocsparseL18csric0_hash_kernelILj256ELj64ELj4EdEEviPKiS2_PT2_S2_PiS2_S5_S5_d21rocsparse_index_base_.private_seg_size, 0
	.set _ZN9rocsparseL18csric0_hash_kernelILj256ELj64ELj4EdEEviPKiS2_PT2_S2_PiS2_S5_S5_d21rocsparse_index_base_.uses_vcc, 1
	.set _ZN9rocsparseL18csric0_hash_kernelILj256ELj64ELj4EdEEviPKiS2_PT2_S2_PiS2_S5_S5_d21rocsparse_index_base_.uses_flat_scratch, 0
	.set _ZN9rocsparseL18csric0_hash_kernelILj256ELj64ELj4EdEEviPKiS2_PT2_S2_PiS2_S5_S5_d21rocsparse_index_base_.has_dyn_sized_stack, 0
	.set _ZN9rocsparseL18csric0_hash_kernelILj256ELj64ELj4EdEEviPKiS2_PT2_S2_PiS2_S5_S5_d21rocsparse_index_base_.has_recursion, 0
	.set _ZN9rocsparseL18csric0_hash_kernelILj256ELj64ELj4EdEEviPKiS2_PT2_S2_PiS2_S5_S5_d21rocsparse_index_base_.has_indirect_call, 0
	.section	.AMDGPU.csdata,"",@progbits
; Kernel info:
; codeLenInByte = 2372
; TotalNumSgprs: 33
; NumVgprs: 39
; ScratchSize: 0
; MemoryBound: 0
; FloatMode: 240
; IeeeMode: 1
; LDSByteSize: 8192 bytes/workgroup (compile time only)
; SGPRBlocks: 0
; VGPRBlocks: 4
; NumSGPRsForWavesPerEU: 33
; NumVGPRsForWavesPerEU: 39
; Occupancy: 16
; WaveLimiterHint : 1
; COMPUTE_PGM_RSRC2:SCRATCH_EN: 0
; COMPUTE_PGM_RSRC2:USER_SGPR: 6
; COMPUTE_PGM_RSRC2:TRAP_HANDLER: 0
; COMPUTE_PGM_RSRC2:TGID_X_EN: 1
; COMPUTE_PGM_RSRC2:TGID_Y_EN: 0
; COMPUTE_PGM_RSRC2:TGID_Z_EN: 0
; COMPUTE_PGM_RSRC2:TIDIG_COMP_CNT: 0
	.section	.text._ZN9rocsparseL18csric0_hash_kernelILj256ELj64ELj8EdEEviPKiS2_PT2_S2_PiS2_S5_S5_d21rocsparse_index_base_,"axG",@progbits,_ZN9rocsparseL18csric0_hash_kernelILj256ELj64ELj8EdEEviPKiS2_PT2_S2_PiS2_S5_S5_d21rocsparse_index_base_,comdat
	.globl	_ZN9rocsparseL18csric0_hash_kernelILj256ELj64ELj8EdEEviPKiS2_PT2_S2_PiS2_S5_S5_d21rocsparse_index_base_ ; -- Begin function _ZN9rocsparseL18csric0_hash_kernelILj256ELj64ELj8EdEEviPKiS2_PT2_S2_PiS2_S5_S5_d21rocsparse_index_base_
	.p2align	8
	.type	_ZN9rocsparseL18csric0_hash_kernelILj256ELj64ELj8EdEEviPKiS2_PT2_S2_PiS2_S5_S5_d21rocsparse_index_base_,@function
_ZN9rocsparseL18csric0_hash_kernelILj256ELj64ELj8EdEEviPKiS2_PT2_S2_PiS2_S5_S5_d21rocsparse_index_base_: ; @_ZN9rocsparseL18csric0_hash_kernelILj256ELj64ELj8EdEEviPKiS2_PT2_S2_PiS2_S5_S5_d21rocsparse_index_base_
; %bb.0:
	s_clause 0x1
	s_load_dwordx8 s[16:23], s[4:5], 0x8
	s_load_dwordx8 s[8:15], s[4:5], 0x28
	v_lshrrev_b32_e32 v1, 6, v0
	v_and_b32_e32 v20, 63, v0
	s_mov_b32 s0, 0
	v_lshlrev_b32_e32 v3, 11, v1
	v_lshlrev_b32_e32 v4, 2, v20
	v_or_b32_e32 v2, 0xffffffc0, v20
	v_or3_b32 v3, v3, v4, 0x2000
	v_mov_b32_e32 v4, -1
.LBB23_1:                               ; =>This Inner Loop Header: Depth=1
	v_add_nc_u32_e32 v2, 64, v2
	ds_write_b32 v3, v4
	v_add_nc_u32_e32 v3, 0x100, v3
	v_cmp_lt_u32_e32 vcc_lo, 0x1bf, v2
	s_or_b32 s0, vcc_lo, s0
	s_andn2_b32 exec_lo, exec_lo, s0
	s_cbranch_execnz .LBB23_1
; %bb.2:
	s_or_b32 exec_lo, exec_lo, s0
	s_load_dword s0, s[4:5], 0x0
	s_lshl_b32 s1, s6, 2
	s_waitcnt lgkmcnt(0)
	buffer_gl0_inv
	v_and_or_b32 v1, 0x3fffffc, s1, v1
	v_cmp_gt_i32_e32 vcc_lo, s0, v1
	s_and_saveexec_b32 s0, vcc_lo
	s_cbranch_execz .LBB23_48
; %bb.3:
	v_lshlrev_b32_e32 v1, 2, v1
	s_load_dword s2, s[4:5], 0x50
	v_lshlrev_b32_e32 v0, 5, v0
	s_mov_b32 s0, exec_lo
	global_load_dword v3, v1, s[10:11]
	v_and_b32_e32 v0, 0x1800, v0
	v_or_b32_e32 v21, 0x2000, v0
	s_waitcnt vmcnt(0)
	v_ashrrev_i32_e32 v4, 31, v3
	v_lshlrev_b64 v[1:2], 2, v[3:4]
	v_add_co_u32 v4, vcc_lo, s16, v1
	v_add_co_ci_u32_e64 v5, null, s17, v2, vcc_lo
	v_add_co_u32 v7, vcc_lo, s22, v1
	v_add_co_ci_u32_e64 v8, null, s23, v2, vcc_lo
	global_load_dwordx2 v[5:6], v[4:5], off
	global_load_dword v4, v[7:8], off
	s_waitcnt vmcnt(1) lgkmcnt(0)
	v_subrev_nc_u32_e32 v5, s2, v5
	v_subrev_nc_u32_e32 v8, s2, v6
	v_add_nc_u32_e32 v6, v5, v20
	v_cmpx_lt_i32_e64 v6, v8
	s_cbranch_execz .LBB23_13
; %bb.4:
	v_mov_b32_e32 v9, -1
	s_mov_b32 s1, 0
	s_branch .LBB23_6
.LBB23_5:                               ;   in Loop: Header=BB23_6 Depth=1
	s_or_b32 exec_lo, exec_lo, s3
	v_add_nc_u32_e32 v6, 64, v6
	v_cmp_ge_i32_e32 vcc_lo, v6, v8
	s_or_b32 s1, vcc_lo, s1
	s_andn2_b32 exec_lo, exec_lo, s1
	s_cbranch_execz .LBB23_13
.LBB23_6:                               ; =>This Loop Header: Depth=1
                                        ;     Child Loop BB23_9 Depth 2
	v_ashrrev_i32_e32 v7, 31, v6
	s_mov_b32 s3, exec_lo
	v_lshlrev_b64 v[10:11], 2, v[6:7]
	v_add_co_u32 v10, vcc_lo, s18, v10
	v_add_co_ci_u32_e64 v11, null, s19, v11, vcc_lo
	global_load_dword v7, v[10:11], off
	s_waitcnt vmcnt(0)
	v_mul_lo_u32 v10, 0x67, v7
	v_and_b32_e32 v10, 0x1ff, v10
	v_lshl_add_u32 v11, v10, 2, v21
	ds_read_b32 v12, v11
	s_waitcnt lgkmcnt(0)
	v_cmpx_ne_u32_e64 v12, v7
	s_cbranch_execz .LBB23_5
; %bb.7:                                ;   in Loop: Header=BB23_6 Depth=1
	s_mov_b32 s6, 0
                                        ; implicit-def: $sgpr7
                                        ; implicit-def: $sgpr11
                                        ; implicit-def: $sgpr10
	s_inst_prefetch 0x1
	s_branch .LBB23_9
	.p2align	6
.LBB23_8:                               ;   in Loop: Header=BB23_9 Depth=2
	s_or_b32 exec_lo, exec_lo, s24
	s_and_b32 s24, exec_lo, s11
	s_or_b32 s6, s24, s6
	s_andn2_b32 s7, s7, exec_lo
	s_and_b32 s24, s10, exec_lo
	s_or_b32 s7, s7, s24
	s_andn2_b32 exec_lo, exec_lo, s6
	s_cbranch_execz .LBB23_11
.LBB23_9:                               ;   Parent Loop BB23_6 Depth=1
                                        ; =>  This Inner Loop Header: Depth=2
	ds_cmpst_rtn_b32 v11, v11, v9, v7
	v_mov_b32_e32 v12, v10
	s_or_b32 s10, s10, exec_lo
	s_or_b32 s11, s11, exec_lo
                                        ; implicit-def: $vgpr10
	s_waitcnt lgkmcnt(0)
	v_cmp_ne_u32_e32 vcc_lo, -1, v11
                                        ; implicit-def: $vgpr11
	s_and_saveexec_b32 s24, vcc_lo
	s_cbranch_execz .LBB23_8
; %bb.10:                               ;   in Loop: Header=BB23_9 Depth=2
	v_add_nc_u32_e32 v10, 1, v12
	s_andn2_b32 s11, s11, exec_lo
	s_andn2_b32 s10, s10, exec_lo
	v_and_b32_e32 v10, 0x1ff, v10
	v_lshl_add_u32 v11, v10, 2, v21
	ds_read_b32 v13, v11
	s_waitcnt lgkmcnt(0)
	v_cmp_eq_u32_e32 vcc_lo, v13, v7
	s_and_b32 s25, vcc_lo, exec_lo
	s_or_b32 s11, s11, s25
	s_branch .LBB23_8
.LBB23_11:                              ;   in Loop: Header=BB23_6 Depth=1
	s_inst_prefetch 0x2
	s_or_b32 exec_lo, exec_lo, s6
	s_and_saveexec_b32 s6, s7
	s_xor_b32 s6, exec_lo, s6
	s_cbranch_execz .LBB23_5
; %bb.12:                               ;   in Loop: Header=BB23_6 Depth=1
	v_lshl_add_u32 v7, v12, 2, v0
	ds_write_b32 v7, v6
	s_branch .LBB23_5
.LBB23_13:
	s_or_b32 exec_lo, exec_lo, s0
	v_mov_b32_e32 v7, 0
	v_mov_b32_e32 v8, 0
	s_mov_b32 s3, exec_lo
	s_waitcnt vmcnt(0) lgkmcnt(0)
	buffer_gl0_inv
	v_cmpx_lt_i32_e64 v5, v4
	s_cbranch_execz .LBB23_35
; %bb.14:
	v_mbcnt_lo_u32_b32 v22, -1, 0
	v_mov_b32_e32 v7, 0
	v_add_nc_u32_e32 v23, -1, v4
	v_subrev_nc_u32_e32 v24, s2, v20
	v_cmp_eq_u32_e64 s0, 63, v20
	v_mov_b32_e32 v8, 0
	v_or_b32_e32 v25, 32, v22
	v_xor_b32_e32 v26, 16, v22
	v_xor_b32_e32 v27, 8, v22
	;; [unrolled: 1-line block ×5, first 2 shown]
	s_mov_b32 s6, 0
	s_branch .LBB23_17
.LBB23_15:                              ;   in Loop: Header=BB23_17 Depth=1
	s_or_b32 exec_lo, exec_lo, s10
.LBB23_16:                              ;   in Loop: Header=BB23_17 Depth=1
	s_or_b32 exec_lo, exec_lo, s7
	v_add_nc_u32_e32 v5, 1, v5
	s_xor_b32 s1, s1, -1
	v_cmp_ge_i32_e32 vcc_lo, v5, v4
	s_or_b32 s1, s1, vcc_lo
	s_and_b32 s1, exec_lo, s1
	s_or_b32 s6, s1, s6
	s_andn2_b32 exec_lo, exec_lo, s6
	s_cbranch_execz .LBB23_34
.LBB23_17:                              ; =>This Loop Header: Depth=1
                                        ;     Child Loop BB23_18 Depth 2
                                        ;     Child Loop BB23_24 Depth 2
                                        ;       Child Loop BB23_27 Depth 3
	v_ashrrev_i32_e32 v6, 31, v5
	s_mov_b32 s1, 0
	v_lshlrev_b64 v[9:10], 2, v[5:6]
	v_lshlrev_b64 v[11:12], 3, v[5:6]
	v_add_co_u32 v9, vcc_lo, s18, v9
	v_add_co_ci_u32_e64 v10, null, s19, v10, vcc_lo
	global_load_dword v9, v[9:10], off
	s_waitcnt vmcnt(0)
	v_subrev_nc_u32_e32 v9, s2, v9
	v_ashrrev_i32_e32 v10, 31, v9
	v_lshlrev_b64 v[13:14], 2, v[9:10]
	v_add_co_u32 v9, vcc_lo, s20, v11
	v_add_co_ci_u32_e64 v10, null, s21, v12, vcc_lo
	v_add_co_u32 v15, vcc_lo, s16, v13
	v_add_co_ci_u32_e64 v16, null, s17, v14, vcc_lo
	s_waitcnt lgkmcnt(1)
	v_add_co_u32 v17, vcc_lo, s22, v13
	s_waitcnt lgkmcnt(0)
	v_add_co_ci_u32_e64 v18, null, s23, v14, vcc_lo
	global_load_dwordx2 v[11:12], v[9:10], off
	global_load_dword v6, v[15:16], off
	global_load_dword v15, v[17:18], off
	v_add_co_u32 v13, vcc_lo, s8, v13
	v_add_co_ci_u32_e64 v14, null, s9, v14, vcc_lo
.LBB23_18:                              ;   Parent Loop BB23_17 Depth=1
                                        ; =>  This Inner Loop Header: Depth=2
	global_load_dword v16, v[13:14], off glc dlc
	s_waitcnt vmcnt(0)
	v_cmp_ne_u32_e32 vcc_lo, 0, v16
	s_or_b32 s1, vcc_lo, s1
	s_andn2_b32 exec_lo, exec_lo, s1
	s_cbranch_execnz .LBB23_18
; %bb.19:                               ;   in Loop: Header=BB23_17 Depth=1
	s_or_b32 exec_lo, exec_lo, s1
	v_cmp_eq_u32_e32 vcc_lo, -1, v15
	buffer_gl1_inv
	buffer_gl0_inv
	v_cndmask_b32_e32 v15, v15, v23, vcc_lo
	v_ashrrev_i32_e32 v16, 31, v15
	v_lshlrev_b64 v[13:14], 3, v[15:16]
	v_add_co_u32 v13, vcc_lo, s20, v13
	v_add_co_ci_u32_e64 v14, null, s21, v14, vcc_lo
	global_load_dwordx2 v[13:14], v[13:14], off
	s_waitcnt vmcnt(0)
	v_cmp_neq_f64_e64 s1, 0, v[13:14]
	s_and_saveexec_b32 s7, s1
	s_cbranch_execz .LBB23_16
; %bb.20:                               ;   in Loop: Header=BB23_17 Depth=1
	v_mov_b32_e32 v16, 0
	v_add_nc_u32_e32 v18, v24, v6
	v_mov_b32_e32 v17, 0
	s_mov_b32 s10, exec_lo
	v_cmpx_lt_i32_e64 v18, v15
	s_cbranch_execz .LBB23_32
; %bb.21:                               ;   in Loop: Header=BB23_17 Depth=1
	v_mov_b32_e32 v16, 0
	v_mov_b32_e32 v17, 0
	s_mov_b32 s11, 0
	s_branch .LBB23_24
.LBB23_22:                              ;   in Loop: Header=BB23_24 Depth=2
	s_or_b32 exec_lo, exec_lo, s25
.LBB23_23:                              ;   in Loop: Header=BB23_24 Depth=2
	s_or_b32 exec_lo, exec_lo, s24
	v_add_nc_u32_e32 v18, 64, v18
	v_cmp_ge_i32_e32 vcc_lo, v18, v15
	s_or_b32 s11, vcc_lo, s11
	s_andn2_b32 exec_lo, exec_lo, s11
	s_cbranch_execz .LBB23_31
.LBB23_24:                              ;   Parent Loop BB23_17 Depth=1
                                        ; =>  This Loop Header: Depth=2
                                        ;       Child Loop BB23_27 Depth 3
	v_ashrrev_i32_e32 v19, 31, v18
	s_mov_b32 s24, exec_lo
	v_lshlrev_b64 v[31:32], 2, v[18:19]
	v_add_co_u32 v31, vcc_lo, s18, v31
	v_add_co_ci_u32_e64 v32, null, s19, v32, vcc_lo
	global_load_dword v6, v[31:32], off
	s_waitcnt vmcnt(0)
	v_mul_lo_u32 v31, 0x67, v6
	v_and_b32_e32 v33, 0x1ff, v31
	v_lshl_add_u32 v31, v33, 2, v21
	ds_read_b32 v32, v31
	s_waitcnt lgkmcnt(0)
	v_cmpx_ne_u32_e32 -1, v32
	s_cbranch_execz .LBB23_23
; %bb.25:                               ;   in Loop: Header=BB23_24 Depth=2
	s_mov_b32 s25, 0
                                        ; implicit-def: $sgpr26
                                        ; implicit-def: $sgpr28
                                        ; implicit-def: $sgpr27
	s_inst_prefetch 0x1
	s_branch .LBB23_27
	.p2align	6
.LBB23_26:                              ;   in Loop: Header=BB23_27 Depth=3
	s_or_b32 exec_lo, exec_lo, s29
	s_and_b32 s29, exec_lo, s28
	s_or_b32 s25, s29, s25
	s_andn2_b32 s26, s26, exec_lo
	s_and_b32 s29, s27, exec_lo
	s_or_b32 s26, s26, s29
	s_andn2_b32 exec_lo, exec_lo, s25
	s_cbranch_execz .LBB23_29
.LBB23_27:                              ;   Parent Loop BB23_17 Depth=1
                                        ;     Parent Loop BB23_24 Depth=2
                                        ; =>    This Inner Loop Header: Depth=3
	v_mov_b32_e32 v31, v33
	v_cmp_ne_u32_e32 vcc_lo, v32, v6
	s_or_b32 s27, s27, exec_lo
	s_or_b32 s28, s28, exec_lo
                                        ; implicit-def: $vgpr33
                                        ; implicit-def: $vgpr32
	s_and_saveexec_b32 s29, vcc_lo
	s_cbranch_execz .LBB23_26
; %bb.28:                               ;   in Loop: Header=BB23_27 Depth=3
	v_add_nc_u32_e32 v32, 1, v31
	s_andn2_b32 s28, s28, exec_lo
	s_andn2_b32 s27, s27, exec_lo
	v_and_b32_e32 v33, 0x1ff, v32
	v_lshl_add_u32 v32, v33, 2, v21
	ds_read_b32 v32, v32
	s_waitcnt lgkmcnt(0)
	v_cmp_eq_u32_e32 vcc_lo, -1, v32
	s_and_b32 s30, vcc_lo, exec_lo
	s_or_b32 s28, s28, s30
	s_branch .LBB23_26
.LBB23_29:                              ;   in Loop: Header=BB23_24 Depth=2
	s_inst_prefetch 0x2
	s_or_b32 exec_lo, exec_lo, s25
	s_and_saveexec_b32 s25, s26
	s_xor_b32 s25, exec_lo, s25
	s_cbranch_execz .LBB23_22
; %bb.30:                               ;   in Loop: Header=BB23_24 Depth=2
	v_lshl_add_u32 v6, v31, 2, v0
	v_lshlrev_b64 v[33:34], 3, v[18:19]
	ds_read_b32 v31, v6
	v_add_co_u32 v33, vcc_lo, s20, v33
	v_add_co_ci_u32_e64 v34, null, s21, v34, vcc_lo
	s_waitcnt lgkmcnt(0)
	v_ashrrev_i32_e32 v32, 31, v31
	v_lshlrev_b64 v[31:32], 3, v[31:32]
	v_add_co_u32 v31, vcc_lo, s20, v31
	v_add_co_ci_u32_e64 v32, null, s21, v32, vcc_lo
	s_clause 0x1
	global_load_dwordx2 v[33:34], v[33:34], off
	global_load_dwordx2 v[31:32], v[31:32], off
	s_waitcnt vmcnt(0)
	v_fma_f64 v[16:17], v[33:34], v[31:32], v[16:17]
	s_branch .LBB23_22
.LBB23_31:                              ;   in Loop: Header=BB23_17 Depth=1
	s_or_b32 exec_lo, exec_lo, s11
.LBB23_32:                              ;   in Loop: Header=BB23_17 Depth=1
	s_or_b32 exec_lo, exec_lo, s10
	v_cmp_gt_i32_e32 vcc_lo, 32, v25
	v_cndmask_b32_e32 v6, v22, v25, vcc_lo
	v_cmp_gt_i32_e32 vcc_lo, 32, v26
	v_lshlrev_b32_e32 v6, 2, v6
	ds_bpermute_b32 v18, v6, v16
	ds_bpermute_b32 v19, v6, v17
	v_cndmask_b32_e32 v6, v22, v26, vcc_lo
	v_cmp_gt_i32_e32 vcc_lo, 32, v27
	v_lshlrev_b32_e32 v6, 2, v6
	s_waitcnt lgkmcnt(0)
	v_add_f64 v[15:16], v[16:17], v[18:19]
	ds_bpermute_b32 v17, v6, v15
	ds_bpermute_b32 v18, v6, v16
	v_cndmask_b32_e32 v6, v22, v27, vcc_lo
	v_cmp_gt_i32_e32 vcc_lo, 32, v28
	v_lshlrev_b32_e32 v6, 2, v6
	s_waitcnt lgkmcnt(0)
	v_add_f64 v[15:16], v[15:16], v[17:18]
	;; [unrolled: 7-line block ×4, first 2 shown]
	ds_bpermute_b32 v17, v6, v15
	ds_bpermute_b32 v18, v6, v16
	v_cndmask_b32_e32 v6, v22, v30, vcc_lo
	v_lshlrev_b32_e32 v6, 2, v6
	s_waitcnt lgkmcnt(0)
	v_add_f64 v[15:16], v[15:16], v[17:18]
	ds_bpermute_b32 v17, v6, v15
	ds_bpermute_b32 v18, v6, v16
	s_and_saveexec_b32 s10, s0
	s_cbranch_execz .LBB23_15
; %bb.33:                               ;   in Loop: Header=BB23_17 Depth=1
	v_div_scale_f64 v[31:32], null, v[13:14], v[13:14], 1.0
	v_div_scale_f64 v[37:38], vcc_lo, 1.0, v[13:14], 1.0
	s_waitcnt lgkmcnt(0)
	v_add_f64 v[15:16], v[15:16], v[17:18]
	v_rcp_f64_e32 v[33:34], v[31:32]
	v_add_f64 v[11:12], v[11:12], -v[15:16]
	v_fma_f64 v[35:36], -v[31:32], v[33:34], 1.0
	v_fma_f64 v[33:34], v[33:34], v[35:36], v[33:34]
	v_fma_f64 v[35:36], -v[31:32], v[33:34], 1.0
	v_fma_f64 v[33:34], v[33:34], v[35:36], v[33:34]
	v_mul_f64 v[35:36], v[37:38], v[33:34]
	v_fma_f64 v[31:32], -v[31:32], v[35:36], v[37:38]
	v_div_fmas_f64 v[31:32], v[31:32], v[33:34], v[35:36]
	v_div_fixup_f64 v[13:14], v[31:32], v[13:14], 1.0
	v_mul_f64 v[11:12], v[13:14], v[11:12]
	v_fma_f64 v[7:8], v[11:12], v[11:12], v[7:8]
	global_store_dwordx2 v[9:10], v[11:12], off
	s_branch .LBB23_15
.LBB23_34:
	s_or_b32 exec_lo, exec_lo, s6
.LBB23_35:
	s_or_b32 exec_lo, exec_lo, s3
	v_cmp_eq_u32_e32 vcc_lo, 63, v20
	v_cmp_lt_i32_e64 s0, -1, v4
	s_and_b32 s0, vcc_lo, s0
	s_and_saveexec_b32 s3, s0
	s_cbranch_execz .LBB23_46
; %bb.36:
	v_mov_b32_e32 v5, 0
	v_add_nc_u32_e32 v0, s2, v3
	v_lshlrev_b64 v[4:5], 3, v[4:5]
	v_add_co_u32 v4, s0, s20, v4
	v_add_co_ci_u32_e64 v5, null, s21, v5, s0
	s_load_dwordx2 s[0:1], s[4:5], 0x48
	global_load_dwordx2 v[9:10], v[4:5], off
	s_waitcnt lgkmcnt(0)
	v_mul_f64 v[11:12], s[0:1], s[0:1]
	s_mov_b32 s1, exec_lo
	s_waitcnt vmcnt(0)
	v_add_f64 v[6:7], v[9:10], -v[7:8]
	v_cmpx_le_f64_e32 v[6:7], v[11:12]
	s_cbranch_execz .LBB23_41
; %bb.37:
	s_mov_b32 s0, exec_lo
	s_brev_b32 s2, -2
.LBB23_38:                              ; =>This Inner Loop Header: Depth=1
	s_ff1_i32_b32 s4, s0
	v_readlane_b32 s5, v0, s4
	s_lshl_b32 s4, 1, s4
	s_andn2_b32 s0, s0, s4
	s_min_i32 s2, s2, s5
	s_cmp_lg_u32 s0, 0
	s_cbranch_scc1 .LBB23_38
; %bb.39:
	v_mbcnt_lo_u32_b32 v3, exec_lo, 0
	s_mov_b32 s4, exec_lo
	v_cmpx_eq_u32_e32 0, v3
	s_xor_b32 s4, exec_lo, s4
	s_cbranch_execz .LBB23_41
; %bb.40:
	v_mov_b32_e32 v3, 0
	v_mov_b32_e32 v8, s2
	global_atomic_smin v3, v8, s[14:15]
.LBB23_41:
	s_or_b32 exec_lo, exec_lo, s1
	v_cmp_gt_f64_e64 s0, 0, v[6:7]
	v_xor_b32_e32 v3, 0x80000000, v7
	v_mov_b32_e32 v8, v6
	v_cmp_eq_f64_e64 s1, 0, v[6:7]
	v_cndmask_b32_e64 v9, v7, v3, s0
	v_cmp_gt_f64_e64 s0, 0x10000000, v[8:9]
	v_cndmask_b32_e64 v3, 0, 0x100, s0
	v_ldexp_f64 v[8:9], v[8:9], v3
	v_cndmask_b32_e64 v3, 0, 0xffffff80, s0
	v_rsq_f64_e32 v[10:11], v[8:9]
	v_cmp_class_f64_e64 s0, v[8:9], 0x260
	v_mul_f64 v[12:13], v[8:9], v[10:11]
	v_mul_f64 v[10:11], v[10:11], 0.5
	v_fma_f64 v[14:15], -v[10:11], v[12:13], 0.5
	v_fma_f64 v[12:13], v[12:13], v[14:15], v[12:13]
	v_fma_f64 v[10:11], v[10:11], v[14:15], v[10:11]
	v_fma_f64 v[14:15], -v[12:13], v[12:13], v[8:9]
	v_fma_f64 v[12:13], v[14:15], v[10:11], v[12:13]
	v_fma_f64 v[14:15], -v[12:13], v[12:13], v[8:9]
	v_fma_f64 v[10:11], v[14:15], v[10:11], v[12:13]
	v_ldexp_f64 v[10:11], v[10:11], v3
	v_cndmask_b32_e64 v7, v11, v9, s0
	v_cndmask_b32_e64 v6, v10, v8, s0
	global_store_dwordx2 v[4:5], v[6:7], off
	s_and_b32 exec_lo, exec_lo, s1
	s_cbranch_execz .LBB23_46
; %bb.42:
	s_mov_b32 s0, exec_lo
	s_brev_b32 s1, -2
.LBB23_43:                              ; =>This Inner Loop Header: Depth=1
	s_ff1_i32_b32 s2, s0
	v_readlane_b32 s4, v0, s2
	s_lshl_b32 s2, 1, s2
	s_andn2_b32 s0, s0, s2
	s_min_i32 s1, s1, s4
	s_cmp_lg_u32 s0, 0
	s_cbranch_scc1 .LBB23_43
; %bb.44:
	v_mbcnt_lo_u32_b32 v0, exec_lo, 0
	s_mov_b32 s2, exec_lo
	v_cmpx_eq_u32_e32 0, v0
	s_xor_b32 s2, exec_lo, s2
	s_cbranch_execz .LBB23_46
; %bb.45:
	v_mov_b32_e32 v0, 0
	v_mov_b32_e32 v3, s1
	global_atomic_smin v0, v3, s[12:13]
.LBB23_46:
	s_or_b32 exec_lo, exec_lo, s3
	s_and_b32 exec_lo, exec_lo, vcc_lo
	s_cbranch_execz .LBB23_48
; %bb.47:
	v_add_co_u32 v0, vcc_lo, s8, v1
	v_add_co_ci_u32_e64 v1, null, s9, v2, vcc_lo
	v_mov_b32_e32 v2, 1
	s_waitcnt lgkmcnt(0)
	s_waitcnt_vscnt null, 0x0
	global_store_dword v[0:1], v2, off
.LBB23_48:
	s_endpgm
	.section	.rodata,"a",@progbits
	.p2align	6, 0x0
	.amdhsa_kernel _ZN9rocsparseL18csric0_hash_kernelILj256ELj64ELj8EdEEviPKiS2_PT2_S2_PiS2_S5_S5_d21rocsparse_index_base_
		.amdhsa_group_segment_fixed_size 16384
		.amdhsa_private_segment_fixed_size 0
		.amdhsa_kernarg_size 84
		.amdhsa_user_sgpr_count 6
		.amdhsa_user_sgpr_private_segment_buffer 1
		.amdhsa_user_sgpr_dispatch_ptr 0
		.amdhsa_user_sgpr_queue_ptr 0
		.amdhsa_user_sgpr_kernarg_segment_ptr 1
		.amdhsa_user_sgpr_dispatch_id 0
		.amdhsa_user_sgpr_flat_scratch_init 0
		.amdhsa_user_sgpr_private_segment_size 0
		.amdhsa_wavefront_size32 1
		.amdhsa_uses_dynamic_stack 0
		.amdhsa_system_sgpr_private_segment_wavefront_offset 0
		.amdhsa_system_sgpr_workgroup_id_x 1
		.amdhsa_system_sgpr_workgroup_id_y 0
		.amdhsa_system_sgpr_workgroup_id_z 0
		.amdhsa_system_sgpr_workgroup_info 0
		.amdhsa_system_vgpr_workitem_id 0
		.amdhsa_next_free_vgpr 39
		.amdhsa_next_free_sgpr 31
		.amdhsa_reserve_vcc 1
		.amdhsa_reserve_flat_scratch 0
		.amdhsa_float_round_mode_32 0
		.amdhsa_float_round_mode_16_64 0
		.amdhsa_float_denorm_mode_32 3
		.amdhsa_float_denorm_mode_16_64 3
		.amdhsa_dx10_clamp 1
		.amdhsa_ieee_mode 1
		.amdhsa_fp16_overflow 0
		.amdhsa_workgroup_processor_mode 1
		.amdhsa_memory_ordered 1
		.amdhsa_forward_progress 1
		.amdhsa_shared_vgpr_count 0
		.amdhsa_exception_fp_ieee_invalid_op 0
		.amdhsa_exception_fp_denorm_src 0
		.amdhsa_exception_fp_ieee_div_zero 0
		.amdhsa_exception_fp_ieee_overflow 0
		.amdhsa_exception_fp_ieee_underflow 0
		.amdhsa_exception_fp_ieee_inexact 0
		.amdhsa_exception_int_div_zero 0
	.end_amdhsa_kernel
	.section	.text._ZN9rocsparseL18csric0_hash_kernelILj256ELj64ELj8EdEEviPKiS2_PT2_S2_PiS2_S5_S5_d21rocsparse_index_base_,"axG",@progbits,_ZN9rocsparseL18csric0_hash_kernelILj256ELj64ELj8EdEEviPKiS2_PT2_S2_PiS2_S5_S5_d21rocsparse_index_base_,comdat
.Lfunc_end23:
	.size	_ZN9rocsparseL18csric0_hash_kernelILj256ELj64ELj8EdEEviPKiS2_PT2_S2_PiS2_S5_S5_d21rocsparse_index_base_, .Lfunc_end23-_ZN9rocsparseL18csric0_hash_kernelILj256ELj64ELj8EdEEviPKiS2_PT2_S2_PiS2_S5_S5_d21rocsparse_index_base_
                                        ; -- End function
	.set _ZN9rocsparseL18csric0_hash_kernelILj256ELj64ELj8EdEEviPKiS2_PT2_S2_PiS2_S5_S5_d21rocsparse_index_base_.num_vgpr, 39
	.set _ZN9rocsparseL18csric0_hash_kernelILj256ELj64ELj8EdEEviPKiS2_PT2_S2_PiS2_S5_S5_d21rocsparse_index_base_.num_agpr, 0
	.set _ZN9rocsparseL18csric0_hash_kernelILj256ELj64ELj8EdEEviPKiS2_PT2_S2_PiS2_S5_S5_d21rocsparse_index_base_.numbered_sgpr, 31
	.set _ZN9rocsparseL18csric0_hash_kernelILj256ELj64ELj8EdEEviPKiS2_PT2_S2_PiS2_S5_S5_d21rocsparse_index_base_.num_named_barrier, 0
	.set _ZN9rocsparseL18csric0_hash_kernelILj256ELj64ELj8EdEEviPKiS2_PT2_S2_PiS2_S5_S5_d21rocsparse_index_base_.private_seg_size, 0
	.set _ZN9rocsparseL18csric0_hash_kernelILj256ELj64ELj8EdEEviPKiS2_PT2_S2_PiS2_S5_S5_d21rocsparse_index_base_.uses_vcc, 1
	.set _ZN9rocsparseL18csric0_hash_kernelILj256ELj64ELj8EdEEviPKiS2_PT2_S2_PiS2_S5_S5_d21rocsparse_index_base_.uses_flat_scratch, 0
	.set _ZN9rocsparseL18csric0_hash_kernelILj256ELj64ELj8EdEEviPKiS2_PT2_S2_PiS2_S5_S5_d21rocsparse_index_base_.has_dyn_sized_stack, 0
	.set _ZN9rocsparseL18csric0_hash_kernelILj256ELj64ELj8EdEEviPKiS2_PT2_S2_PiS2_S5_S5_d21rocsparse_index_base_.has_recursion, 0
	.set _ZN9rocsparseL18csric0_hash_kernelILj256ELj64ELj8EdEEviPKiS2_PT2_S2_PiS2_S5_S5_d21rocsparse_index_base_.has_indirect_call, 0
	.section	.AMDGPU.csdata,"",@progbits
; Kernel info:
; codeLenInByte = 2372
; TotalNumSgprs: 33
; NumVgprs: 39
; ScratchSize: 0
; MemoryBound: 0
; FloatMode: 240
; IeeeMode: 1
; LDSByteSize: 16384 bytes/workgroup (compile time only)
; SGPRBlocks: 0
; VGPRBlocks: 4
; NumSGPRsForWavesPerEU: 33
; NumVGPRsForWavesPerEU: 39
; Occupancy: 16
; WaveLimiterHint : 1
; COMPUTE_PGM_RSRC2:SCRATCH_EN: 0
; COMPUTE_PGM_RSRC2:USER_SGPR: 6
; COMPUTE_PGM_RSRC2:TRAP_HANDLER: 0
; COMPUTE_PGM_RSRC2:TGID_X_EN: 1
; COMPUTE_PGM_RSRC2:TGID_Y_EN: 0
; COMPUTE_PGM_RSRC2:TGID_Z_EN: 0
; COMPUTE_PGM_RSRC2:TIDIG_COMP_CNT: 0
	.section	.text._ZN9rocsparseL18csric0_hash_kernelILj256ELj64ELj16EdEEviPKiS2_PT2_S2_PiS2_S5_S5_d21rocsparse_index_base_,"axG",@progbits,_ZN9rocsparseL18csric0_hash_kernelILj256ELj64ELj16EdEEviPKiS2_PT2_S2_PiS2_S5_S5_d21rocsparse_index_base_,comdat
	.globl	_ZN9rocsparseL18csric0_hash_kernelILj256ELj64ELj16EdEEviPKiS2_PT2_S2_PiS2_S5_S5_d21rocsparse_index_base_ ; -- Begin function _ZN9rocsparseL18csric0_hash_kernelILj256ELj64ELj16EdEEviPKiS2_PT2_S2_PiS2_S5_S5_d21rocsparse_index_base_
	.p2align	8
	.type	_ZN9rocsparseL18csric0_hash_kernelILj256ELj64ELj16EdEEviPKiS2_PT2_S2_PiS2_S5_S5_d21rocsparse_index_base_,@function
_ZN9rocsparseL18csric0_hash_kernelILj256ELj64ELj16EdEEviPKiS2_PT2_S2_PiS2_S5_S5_d21rocsparse_index_base_: ; @_ZN9rocsparseL18csric0_hash_kernelILj256ELj64ELj16EdEEviPKiS2_PT2_S2_PiS2_S5_S5_d21rocsparse_index_base_
; %bb.0:
	s_clause 0x1
	s_load_dwordx8 s[16:23], s[4:5], 0x8
	s_load_dwordx8 s[8:15], s[4:5], 0x28
	v_lshrrev_b32_e32 v1, 6, v0
	v_and_b32_e32 v20, 63, v0
	s_mov_b32 s0, 0
	v_lshlrev_b32_e32 v3, 12, v1
	v_lshlrev_b32_e32 v4, 2, v20
	v_or_b32_e32 v2, 0xffffffc0, v20
	v_or3_b32 v3, v3, v4, 0x4000
	v_mov_b32_e32 v4, -1
.LBB24_1:                               ; =>This Inner Loop Header: Depth=1
	v_add_nc_u32_e32 v2, 64, v2
	ds_write_b32 v3, v4
	v_add_nc_u32_e32 v3, 0x100, v3
	v_cmp_lt_u32_e32 vcc_lo, 0x3bf, v2
	s_or_b32 s0, vcc_lo, s0
	s_andn2_b32 exec_lo, exec_lo, s0
	s_cbranch_execnz .LBB24_1
; %bb.2:
	s_or_b32 exec_lo, exec_lo, s0
	s_load_dword s0, s[4:5], 0x0
	s_lshl_b32 s1, s6, 2
	s_waitcnt lgkmcnt(0)
	buffer_gl0_inv
	v_and_or_b32 v1, 0x3fffffc, s1, v1
	v_cmp_gt_i32_e32 vcc_lo, s0, v1
	s_and_saveexec_b32 s0, vcc_lo
	s_cbranch_execz .LBB24_48
; %bb.3:
	v_lshlrev_b32_e32 v1, 2, v1
	s_load_dword s2, s[4:5], 0x50
	v_lshlrev_b32_e32 v0, 6, v0
	s_mov_b32 s0, exec_lo
	global_load_dword v3, v1, s[10:11]
	v_and_b32_e32 v0, 0x3000, v0
	v_or_b32_e32 v21, 0x4000, v0
	s_waitcnt vmcnt(0)
	v_ashrrev_i32_e32 v4, 31, v3
	v_lshlrev_b64 v[1:2], 2, v[3:4]
	v_add_co_u32 v4, vcc_lo, s16, v1
	v_add_co_ci_u32_e64 v5, null, s17, v2, vcc_lo
	v_add_co_u32 v7, vcc_lo, s22, v1
	v_add_co_ci_u32_e64 v8, null, s23, v2, vcc_lo
	global_load_dwordx2 v[5:6], v[4:5], off
	global_load_dword v4, v[7:8], off
	s_waitcnt vmcnt(1) lgkmcnt(0)
	v_subrev_nc_u32_e32 v5, s2, v5
	v_subrev_nc_u32_e32 v8, s2, v6
	v_add_nc_u32_e32 v6, v5, v20
	v_cmpx_lt_i32_e64 v6, v8
	s_cbranch_execz .LBB24_13
; %bb.4:
	v_mov_b32_e32 v9, -1
	s_mov_b32 s1, 0
	s_branch .LBB24_6
.LBB24_5:                               ;   in Loop: Header=BB24_6 Depth=1
	s_or_b32 exec_lo, exec_lo, s3
	v_add_nc_u32_e32 v6, 64, v6
	v_cmp_ge_i32_e32 vcc_lo, v6, v8
	s_or_b32 s1, vcc_lo, s1
	s_andn2_b32 exec_lo, exec_lo, s1
	s_cbranch_execz .LBB24_13
.LBB24_6:                               ; =>This Loop Header: Depth=1
                                        ;     Child Loop BB24_9 Depth 2
	v_ashrrev_i32_e32 v7, 31, v6
	s_mov_b32 s3, exec_lo
	v_lshlrev_b64 v[10:11], 2, v[6:7]
	v_add_co_u32 v10, vcc_lo, s18, v10
	v_add_co_ci_u32_e64 v11, null, s19, v11, vcc_lo
	global_load_dword v7, v[10:11], off
	s_waitcnt vmcnt(0)
	v_mul_lo_u32 v10, 0x67, v7
	v_and_b32_e32 v10, 0x3ff, v10
	v_lshl_add_u32 v11, v10, 2, v21
	ds_read_b32 v12, v11
	s_waitcnt lgkmcnt(0)
	v_cmpx_ne_u32_e64 v12, v7
	s_cbranch_execz .LBB24_5
; %bb.7:                                ;   in Loop: Header=BB24_6 Depth=1
	s_mov_b32 s6, 0
                                        ; implicit-def: $sgpr7
                                        ; implicit-def: $sgpr11
                                        ; implicit-def: $sgpr10
	s_inst_prefetch 0x1
	s_branch .LBB24_9
	.p2align	6
.LBB24_8:                               ;   in Loop: Header=BB24_9 Depth=2
	s_or_b32 exec_lo, exec_lo, s24
	s_and_b32 s24, exec_lo, s11
	s_or_b32 s6, s24, s6
	s_andn2_b32 s7, s7, exec_lo
	s_and_b32 s24, s10, exec_lo
	s_or_b32 s7, s7, s24
	s_andn2_b32 exec_lo, exec_lo, s6
	s_cbranch_execz .LBB24_11
.LBB24_9:                               ;   Parent Loop BB24_6 Depth=1
                                        ; =>  This Inner Loop Header: Depth=2
	ds_cmpst_rtn_b32 v11, v11, v9, v7
	v_mov_b32_e32 v12, v10
	s_or_b32 s10, s10, exec_lo
	s_or_b32 s11, s11, exec_lo
                                        ; implicit-def: $vgpr10
	s_waitcnt lgkmcnt(0)
	v_cmp_ne_u32_e32 vcc_lo, -1, v11
                                        ; implicit-def: $vgpr11
	s_and_saveexec_b32 s24, vcc_lo
	s_cbranch_execz .LBB24_8
; %bb.10:                               ;   in Loop: Header=BB24_9 Depth=2
	v_add_nc_u32_e32 v10, 1, v12
	s_andn2_b32 s11, s11, exec_lo
	s_andn2_b32 s10, s10, exec_lo
	v_and_b32_e32 v10, 0x3ff, v10
	v_lshl_add_u32 v11, v10, 2, v21
	ds_read_b32 v13, v11
	s_waitcnt lgkmcnt(0)
	v_cmp_eq_u32_e32 vcc_lo, v13, v7
	s_and_b32 s25, vcc_lo, exec_lo
	s_or_b32 s11, s11, s25
	s_branch .LBB24_8
.LBB24_11:                              ;   in Loop: Header=BB24_6 Depth=1
	s_inst_prefetch 0x2
	s_or_b32 exec_lo, exec_lo, s6
	s_and_saveexec_b32 s6, s7
	s_xor_b32 s6, exec_lo, s6
	s_cbranch_execz .LBB24_5
; %bb.12:                               ;   in Loop: Header=BB24_6 Depth=1
	v_lshl_add_u32 v7, v12, 2, v0
	ds_write_b32 v7, v6
	s_branch .LBB24_5
.LBB24_13:
	s_or_b32 exec_lo, exec_lo, s0
	v_mov_b32_e32 v7, 0
	v_mov_b32_e32 v8, 0
	s_mov_b32 s3, exec_lo
	s_waitcnt vmcnt(0) lgkmcnt(0)
	buffer_gl0_inv
	v_cmpx_lt_i32_e64 v5, v4
	s_cbranch_execz .LBB24_35
; %bb.14:
	v_mbcnt_lo_u32_b32 v22, -1, 0
	v_mov_b32_e32 v7, 0
	v_add_nc_u32_e32 v23, -1, v4
	v_subrev_nc_u32_e32 v24, s2, v20
	v_cmp_eq_u32_e64 s0, 63, v20
	v_mov_b32_e32 v8, 0
	v_or_b32_e32 v25, 32, v22
	v_xor_b32_e32 v26, 16, v22
	v_xor_b32_e32 v27, 8, v22
	;; [unrolled: 1-line block ×5, first 2 shown]
	s_mov_b32 s6, 0
	s_branch .LBB24_17
.LBB24_15:                              ;   in Loop: Header=BB24_17 Depth=1
	s_or_b32 exec_lo, exec_lo, s10
.LBB24_16:                              ;   in Loop: Header=BB24_17 Depth=1
	s_or_b32 exec_lo, exec_lo, s7
	v_add_nc_u32_e32 v5, 1, v5
	s_xor_b32 s1, s1, -1
	v_cmp_ge_i32_e32 vcc_lo, v5, v4
	s_or_b32 s1, s1, vcc_lo
	s_and_b32 s1, exec_lo, s1
	s_or_b32 s6, s1, s6
	s_andn2_b32 exec_lo, exec_lo, s6
	s_cbranch_execz .LBB24_34
.LBB24_17:                              ; =>This Loop Header: Depth=1
                                        ;     Child Loop BB24_18 Depth 2
                                        ;     Child Loop BB24_24 Depth 2
                                        ;       Child Loop BB24_27 Depth 3
	v_ashrrev_i32_e32 v6, 31, v5
	s_mov_b32 s1, 0
	v_lshlrev_b64 v[9:10], 2, v[5:6]
	v_lshlrev_b64 v[11:12], 3, v[5:6]
	v_add_co_u32 v9, vcc_lo, s18, v9
	v_add_co_ci_u32_e64 v10, null, s19, v10, vcc_lo
	global_load_dword v9, v[9:10], off
	s_waitcnt vmcnt(0)
	v_subrev_nc_u32_e32 v9, s2, v9
	v_ashrrev_i32_e32 v10, 31, v9
	v_lshlrev_b64 v[13:14], 2, v[9:10]
	v_add_co_u32 v9, vcc_lo, s20, v11
	v_add_co_ci_u32_e64 v10, null, s21, v12, vcc_lo
	v_add_co_u32 v15, vcc_lo, s16, v13
	v_add_co_ci_u32_e64 v16, null, s17, v14, vcc_lo
	s_waitcnt lgkmcnt(1)
	v_add_co_u32 v17, vcc_lo, s22, v13
	s_waitcnt lgkmcnt(0)
	v_add_co_ci_u32_e64 v18, null, s23, v14, vcc_lo
	global_load_dwordx2 v[11:12], v[9:10], off
	global_load_dword v6, v[15:16], off
	global_load_dword v15, v[17:18], off
	v_add_co_u32 v13, vcc_lo, s8, v13
	v_add_co_ci_u32_e64 v14, null, s9, v14, vcc_lo
.LBB24_18:                              ;   Parent Loop BB24_17 Depth=1
                                        ; =>  This Inner Loop Header: Depth=2
	global_load_dword v16, v[13:14], off glc dlc
	s_waitcnt vmcnt(0)
	v_cmp_ne_u32_e32 vcc_lo, 0, v16
	s_or_b32 s1, vcc_lo, s1
	s_andn2_b32 exec_lo, exec_lo, s1
	s_cbranch_execnz .LBB24_18
; %bb.19:                               ;   in Loop: Header=BB24_17 Depth=1
	s_or_b32 exec_lo, exec_lo, s1
	v_cmp_eq_u32_e32 vcc_lo, -1, v15
	buffer_gl1_inv
	buffer_gl0_inv
	v_cndmask_b32_e32 v15, v15, v23, vcc_lo
	v_ashrrev_i32_e32 v16, 31, v15
	v_lshlrev_b64 v[13:14], 3, v[15:16]
	v_add_co_u32 v13, vcc_lo, s20, v13
	v_add_co_ci_u32_e64 v14, null, s21, v14, vcc_lo
	global_load_dwordx2 v[13:14], v[13:14], off
	s_waitcnt vmcnt(0)
	v_cmp_neq_f64_e64 s1, 0, v[13:14]
	s_and_saveexec_b32 s7, s1
	s_cbranch_execz .LBB24_16
; %bb.20:                               ;   in Loop: Header=BB24_17 Depth=1
	v_mov_b32_e32 v16, 0
	v_add_nc_u32_e32 v18, v24, v6
	v_mov_b32_e32 v17, 0
	s_mov_b32 s10, exec_lo
	v_cmpx_lt_i32_e64 v18, v15
	s_cbranch_execz .LBB24_32
; %bb.21:                               ;   in Loop: Header=BB24_17 Depth=1
	v_mov_b32_e32 v16, 0
	v_mov_b32_e32 v17, 0
	s_mov_b32 s11, 0
	s_branch .LBB24_24
.LBB24_22:                              ;   in Loop: Header=BB24_24 Depth=2
	s_or_b32 exec_lo, exec_lo, s25
.LBB24_23:                              ;   in Loop: Header=BB24_24 Depth=2
	s_or_b32 exec_lo, exec_lo, s24
	v_add_nc_u32_e32 v18, 64, v18
	v_cmp_ge_i32_e32 vcc_lo, v18, v15
	s_or_b32 s11, vcc_lo, s11
	s_andn2_b32 exec_lo, exec_lo, s11
	s_cbranch_execz .LBB24_31
.LBB24_24:                              ;   Parent Loop BB24_17 Depth=1
                                        ; =>  This Loop Header: Depth=2
                                        ;       Child Loop BB24_27 Depth 3
	v_ashrrev_i32_e32 v19, 31, v18
	s_mov_b32 s24, exec_lo
	v_lshlrev_b64 v[31:32], 2, v[18:19]
	v_add_co_u32 v31, vcc_lo, s18, v31
	v_add_co_ci_u32_e64 v32, null, s19, v32, vcc_lo
	global_load_dword v6, v[31:32], off
	s_waitcnt vmcnt(0)
	v_mul_lo_u32 v31, 0x67, v6
	v_and_b32_e32 v33, 0x3ff, v31
	v_lshl_add_u32 v31, v33, 2, v21
	ds_read_b32 v32, v31
	s_waitcnt lgkmcnt(0)
	v_cmpx_ne_u32_e32 -1, v32
	s_cbranch_execz .LBB24_23
; %bb.25:                               ;   in Loop: Header=BB24_24 Depth=2
	s_mov_b32 s25, 0
                                        ; implicit-def: $sgpr26
                                        ; implicit-def: $sgpr28
                                        ; implicit-def: $sgpr27
	s_inst_prefetch 0x1
	s_branch .LBB24_27
	.p2align	6
.LBB24_26:                              ;   in Loop: Header=BB24_27 Depth=3
	s_or_b32 exec_lo, exec_lo, s29
	s_and_b32 s29, exec_lo, s28
	s_or_b32 s25, s29, s25
	s_andn2_b32 s26, s26, exec_lo
	s_and_b32 s29, s27, exec_lo
	s_or_b32 s26, s26, s29
	s_andn2_b32 exec_lo, exec_lo, s25
	s_cbranch_execz .LBB24_29
.LBB24_27:                              ;   Parent Loop BB24_17 Depth=1
                                        ;     Parent Loop BB24_24 Depth=2
                                        ; =>    This Inner Loop Header: Depth=3
	v_mov_b32_e32 v31, v33
	v_cmp_ne_u32_e32 vcc_lo, v32, v6
	s_or_b32 s27, s27, exec_lo
	s_or_b32 s28, s28, exec_lo
                                        ; implicit-def: $vgpr33
                                        ; implicit-def: $vgpr32
	s_and_saveexec_b32 s29, vcc_lo
	s_cbranch_execz .LBB24_26
; %bb.28:                               ;   in Loop: Header=BB24_27 Depth=3
	v_add_nc_u32_e32 v32, 1, v31
	s_andn2_b32 s28, s28, exec_lo
	s_andn2_b32 s27, s27, exec_lo
	v_and_b32_e32 v33, 0x3ff, v32
	v_lshl_add_u32 v32, v33, 2, v21
	ds_read_b32 v32, v32
	s_waitcnt lgkmcnt(0)
	v_cmp_eq_u32_e32 vcc_lo, -1, v32
	s_and_b32 s30, vcc_lo, exec_lo
	s_or_b32 s28, s28, s30
	s_branch .LBB24_26
.LBB24_29:                              ;   in Loop: Header=BB24_24 Depth=2
	s_inst_prefetch 0x2
	s_or_b32 exec_lo, exec_lo, s25
	s_and_saveexec_b32 s25, s26
	s_xor_b32 s25, exec_lo, s25
	s_cbranch_execz .LBB24_22
; %bb.30:                               ;   in Loop: Header=BB24_24 Depth=2
	v_lshl_add_u32 v6, v31, 2, v0
	v_lshlrev_b64 v[33:34], 3, v[18:19]
	ds_read_b32 v31, v6
	v_add_co_u32 v33, vcc_lo, s20, v33
	v_add_co_ci_u32_e64 v34, null, s21, v34, vcc_lo
	s_waitcnt lgkmcnt(0)
	v_ashrrev_i32_e32 v32, 31, v31
	v_lshlrev_b64 v[31:32], 3, v[31:32]
	v_add_co_u32 v31, vcc_lo, s20, v31
	v_add_co_ci_u32_e64 v32, null, s21, v32, vcc_lo
	s_clause 0x1
	global_load_dwordx2 v[33:34], v[33:34], off
	global_load_dwordx2 v[31:32], v[31:32], off
	s_waitcnt vmcnt(0)
	v_fma_f64 v[16:17], v[33:34], v[31:32], v[16:17]
	s_branch .LBB24_22
.LBB24_31:                              ;   in Loop: Header=BB24_17 Depth=1
	s_or_b32 exec_lo, exec_lo, s11
.LBB24_32:                              ;   in Loop: Header=BB24_17 Depth=1
	s_or_b32 exec_lo, exec_lo, s10
	v_cmp_gt_i32_e32 vcc_lo, 32, v25
	v_cndmask_b32_e32 v6, v22, v25, vcc_lo
	v_cmp_gt_i32_e32 vcc_lo, 32, v26
	v_lshlrev_b32_e32 v6, 2, v6
	ds_bpermute_b32 v18, v6, v16
	ds_bpermute_b32 v19, v6, v17
	v_cndmask_b32_e32 v6, v22, v26, vcc_lo
	v_cmp_gt_i32_e32 vcc_lo, 32, v27
	v_lshlrev_b32_e32 v6, 2, v6
	s_waitcnt lgkmcnt(0)
	v_add_f64 v[15:16], v[16:17], v[18:19]
	ds_bpermute_b32 v17, v6, v15
	ds_bpermute_b32 v18, v6, v16
	v_cndmask_b32_e32 v6, v22, v27, vcc_lo
	v_cmp_gt_i32_e32 vcc_lo, 32, v28
	v_lshlrev_b32_e32 v6, 2, v6
	s_waitcnt lgkmcnt(0)
	v_add_f64 v[15:16], v[15:16], v[17:18]
	;; [unrolled: 7-line block ×4, first 2 shown]
	ds_bpermute_b32 v17, v6, v15
	ds_bpermute_b32 v18, v6, v16
	v_cndmask_b32_e32 v6, v22, v30, vcc_lo
	v_lshlrev_b32_e32 v6, 2, v6
	s_waitcnt lgkmcnt(0)
	v_add_f64 v[15:16], v[15:16], v[17:18]
	ds_bpermute_b32 v17, v6, v15
	ds_bpermute_b32 v18, v6, v16
	s_and_saveexec_b32 s10, s0
	s_cbranch_execz .LBB24_15
; %bb.33:                               ;   in Loop: Header=BB24_17 Depth=1
	v_div_scale_f64 v[31:32], null, v[13:14], v[13:14], 1.0
	v_div_scale_f64 v[37:38], vcc_lo, 1.0, v[13:14], 1.0
	s_waitcnt lgkmcnt(0)
	v_add_f64 v[15:16], v[15:16], v[17:18]
	v_rcp_f64_e32 v[33:34], v[31:32]
	v_add_f64 v[11:12], v[11:12], -v[15:16]
	v_fma_f64 v[35:36], -v[31:32], v[33:34], 1.0
	v_fma_f64 v[33:34], v[33:34], v[35:36], v[33:34]
	v_fma_f64 v[35:36], -v[31:32], v[33:34], 1.0
	v_fma_f64 v[33:34], v[33:34], v[35:36], v[33:34]
	v_mul_f64 v[35:36], v[37:38], v[33:34]
	v_fma_f64 v[31:32], -v[31:32], v[35:36], v[37:38]
	v_div_fmas_f64 v[31:32], v[31:32], v[33:34], v[35:36]
	v_div_fixup_f64 v[13:14], v[31:32], v[13:14], 1.0
	v_mul_f64 v[11:12], v[13:14], v[11:12]
	v_fma_f64 v[7:8], v[11:12], v[11:12], v[7:8]
	global_store_dwordx2 v[9:10], v[11:12], off
	s_branch .LBB24_15
.LBB24_34:
	s_or_b32 exec_lo, exec_lo, s6
.LBB24_35:
	s_or_b32 exec_lo, exec_lo, s3
	v_cmp_eq_u32_e32 vcc_lo, 63, v20
	v_cmp_lt_i32_e64 s0, -1, v4
	s_and_b32 s0, vcc_lo, s0
	s_and_saveexec_b32 s3, s0
	s_cbranch_execz .LBB24_46
; %bb.36:
	v_mov_b32_e32 v5, 0
	v_add_nc_u32_e32 v0, s2, v3
	v_lshlrev_b64 v[4:5], 3, v[4:5]
	v_add_co_u32 v4, s0, s20, v4
	v_add_co_ci_u32_e64 v5, null, s21, v5, s0
	s_load_dwordx2 s[0:1], s[4:5], 0x48
	global_load_dwordx2 v[9:10], v[4:5], off
	s_waitcnt lgkmcnt(0)
	v_mul_f64 v[11:12], s[0:1], s[0:1]
	s_mov_b32 s1, exec_lo
	s_waitcnt vmcnt(0)
	v_add_f64 v[6:7], v[9:10], -v[7:8]
	v_cmpx_le_f64_e32 v[6:7], v[11:12]
	s_cbranch_execz .LBB24_41
; %bb.37:
	s_mov_b32 s0, exec_lo
	s_brev_b32 s2, -2
.LBB24_38:                              ; =>This Inner Loop Header: Depth=1
	s_ff1_i32_b32 s4, s0
	v_readlane_b32 s5, v0, s4
	s_lshl_b32 s4, 1, s4
	s_andn2_b32 s0, s0, s4
	s_min_i32 s2, s2, s5
	s_cmp_lg_u32 s0, 0
	s_cbranch_scc1 .LBB24_38
; %bb.39:
	v_mbcnt_lo_u32_b32 v3, exec_lo, 0
	s_mov_b32 s4, exec_lo
	v_cmpx_eq_u32_e32 0, v3
	s_xor_b32 s4, exec_lo, s4
	s_cbranch_execz .LBB24_41
; %bb.40:
	v_mov_b32_e32 v3, 0
	v_mov_b32_e32 v8, s2
	global_atomic_smin v3, v8, s[14:15]
.LBB24_41:
	s_or_b32 exec_lo, exec_lo, s1
	v_cmp_gt_f64_e64 s0, 0, v[6:7]
	v_xor_b32_e32 v3, 0x80000000, v7
	v_mov_b32_e32 v8, v6
	v_cmp_eq_f64_e64 s1, 0, v[6:7]
	v_cndmask_b32_e64 v9, v7, v3, s0
	v_cmp_gt_f64_e64 s0, 0x10000000, v[8:9]
	v_cndmask_b32_e64 v3, 0, 0x100, s0
	v_ldexp_f64 v[8:9], v[8:9], v3
	v_cndmask_b32_e64 v3, 0, 0xffffff80, s0
	v_rsq_f64_e32 v[10:11], v[8:9]
	v_cmp_class_f64_e64 s0, v[8:9], 0x260
	v_mul_f64 v[12:13], v[8:9], v[10:11]
	v_mul_f64 v[10:11], v[10:11], 0.5
	v_fma_f64 v[14:15], -v[10:11], v[12:13], 0.5
	v_fma_f64 v[12:13], v[12:13], v[14:15], v[12:13]
	v_fma_f64 v[10:11], v[10:11], v[14:15], v[10:11]
	v_fma_f64 v[14:15], -v[12:13], v[12:13], v[8:9]
	v_fma_f64 v[12:13], v[14:15], v[10:11], v[12:13]
	v_fma_f64 v[14:15], -v[12:13], v[12:13], v[8:9]
	v_fma_f64 v[10:11], v[14:15], v[10:11], v[12:13]
	v_ldexp_f64 v[10:11], v[10:11], v3
	v_cndmask_b32_e64 v7, v11, v9, s0
	v_cndmask_b32_e64 v6, v10, v8, s0
	global_store_dwordx2 v[4:5], v[6:7], off
	s_and_b32 exec_lo, exec_lo, s1
	s_cbranch_execz .LBB24_46
; %bb.42:
	s_mov_b32 s0, exec_lo
	s_brev_b32 s1, -2
.LBB24_43:                              ; =>This Inner Loop Header: Depth=1
	s_ff1_i32_b32 s2, s0
	v_readlane_b32 s4, v0, s2
	s_lshl_b32 s2, 1, s2
	s_andn2_b32 s0, s0, s2
	s_min_i32 s1, s1, s4
	s_cmp_lg_u32 s0, 0
	s_cbranch_scc1 .LBB24_43
; %bb.44:
	v_mbcnt_lo_u32_b32 v0, exec_lo, 0
	s_mov_b32 s2, exec_lo
	v_cmpx_eq_u32_e32 0, v0
	s_xor_b32 s2, exec_lo, s2
	s_cbranch_execz .LBB24_46
; %bb.45:
	v_mov_b32_e32 v0, 0
	v_mov_b32_e32 v3, s1
	global_atomic_smin v0, v3, s[12:13]
.LBB24_46:
	s_or_b32 exec_lo, exec_lo, s3
	s_and_b32 exec_lo, exec_lo, vcc_lo
	s_cbranch_execz .LBB24_48
; %bb.47:
	v_add_co_u32 v0, vcc_lo, s8, v1
	v_add_co_ci_u32_e64 v1, null, s9, v2, vcc_lo
	v_mov_b32_e32 v2, 1
	s_waitcnt lgkmcnt(0)
	s_waitcnt_vscnt null, 0x0
	global_store_dword v[0:1], v2, off
.LBB24_48:
	s_endpgm
	.section	.rodata,"a",@progbits
	.p2align	6, 0x0
	.amdhsa_kernel _ZN9rocsparseL18csric0_hash_kernelILj256ELj64ELj16EdEEviPKiS2_PT2_S2_PiS2_S5_S5_d21rocsparse_index_base_
		.amdhsa_group_segment_fixed_size 32768
		.amdhsa_private_segment_fixed_size 0
		.amdhsa_kernarg_size 84
		.amdhsa_user_sgpr_count 6
		.amdhsa_user_sgpr_private_segment_buffer 1
		.amdhsa_user_sgpr_dispatch_ptr 0
		.amdhsa_user_sgpr_queue_ptr 0
		.amdhsa_user_sgpr_kernarg_segment_ptr 1
		.amdhsa_user_sgpr_dispatch_id 0
		.amdhsa_user_sgpr_flat_scratch_init 0
		.amdhsa_user_sgpr_private_segment_size 0
		.amdhsa_wavefront_size32 1
		.amdhsa_uses_dynamic_stack 0
		.amdhsa_system_sgpr_private_segment_wavefront_offset 0
		.amdhsa_system_sgpr_workgroup_id_x 1
		.amdhsa_system_sgpr_workgroup_id_y 0
		.amdhsa_system_sgpr_workgroup_id_z 0
		.amdhsa_system_sgpr_workgroup_info 0
		.amdhsa_system_vgpr_workitem_id 0
		.amdhsa_next_free_vgpr 113
		.amdhsa_next_free_sgpr 31
		.amdhsa_reserve_vcc 1
		.amdhsa_reserve_flat_scratch 0
		.amdhsa_float_round_mode_32 0
		.amdhsa_float_round_mode_16_64 0
		.amdhsa_float_denorm_mode_32 3
		.amdhsa_float_denorm_mode_16_64 3
		.amdhsa_dx10_clamp 1
		.amdhsa_ieee_mode 1
		.amdhsa_fp16_overflow 0
		.amdhsa_workgroup_processor_mode 1
		.amdhsa_memory_ordered 1
		.amdhsa_forward_progress 1
		.amdhsa_shared_vgpr_count 0
		.amdhsa_exception_fp_ieee_invalid_op 0
		.amdhsa_exception_fp_denorm_src 0
		.amdhsa_exception_fp_ieee_div_zero 0
		.amdhsa_exception_fp_ieee_overflow 0
		.amdhsa_exception_fp_ieee_underflow 0
		.amdhsa_exception_fp_ieee_inexact 0
		.amdhsa_exception_int_div_zero 0
	.end_amdhsa_kernel
	.section	.text._ZN9rocsparseL18csric0_hash_kernelILj256ELj64ELj16EdEEviPKiS2_PT2_S2_PiS2_S5_S5_d21rocsparse_index_base_,"axG",@progbits,_ZN9rocsparseL18csric0_hash_kernelILj256ELj64ELj16EdEEviPKiS2_PT2_S2_PiS2_S5_S5_d21rocsparse_index_base_,comdat
.Lfunc_end24:
	.size	_ZN9rocsparseL18csric0_hash_kernelILj256ELj64ELj16EdEEviPKiS2_PT2_S2_PiS2_S5_S5_d21rocsparse_index_base_, .Lfunc_end24-_ZN9rocsparseL18csric0_hash_kernelILj256ELj64ELj16EdEEviPKiS2_PT2_S2_PiS2_S5_S5_d21rocsparse_index_base_
                                        ; -- End function
	.set _ZN9rocsparseL18csric0_hash_kernelILj256ELj64ELj16EdEEviPKiS2_PT2_S2_PiS2_S5_S5_d21rocsparse_index_base_.num_vgpr, 39
	.set _ZN9rocsparseL18csric0_hash_kernelILj256ELj64ELj16EdEEviPKiS2_PT2_S2_PiS2_S5_S5_d21rocsparse_index_base_.num_agpr, 0
	.set _ZN9rocsparseL18csric0_hash_kernelILj256ELj64ELj16EdEEviPKiS2_PT2_S2_PiS2_S5_S5_d21rocsparse_index_base_.numbered_sgpr, 31
	.set _ZN9rocsparseL18csric0_hash_kernelILj256ELj64ELj16EdEEviPKiS2_PT2_S2_PiS2_S5_S5_d21rocsparse_index_base_.num_named_barrier, 0
	.set _ZN9rocsparseL18csric0_hash_kernelILj256ELj64ELj16EdEEviPKiS2_PT2_S2_PiS2_S5_S5_d21rocsparse_index_base_.private_seg_size, 0
	.set _ZN9rocsparseL18csric0_hash_kernelILj256ELj64ELj16EdEEviPKiS2_PT2_S2_PiS2_S5_S5_d21rocsparse_index_base_.uses_vcc, 1
	.set _ZN9rocsparseL18csric0_hash_kernelILj256ELj64ELj16EdEEviPKiS2_PT2_S2_PiS2_S5_S5_d21rocsparse_index_base_.uses_flat_scratch, 0
	.set _ZN9rocsparseL18csric0_hash_kernelILj256ELj64ELj16EdEEviPKiS2_PT2_S2_PiS2_S5_S5_d21rocsparse_index_base_.has_dyn_sized_stack, 0
	.set _ZN9rocsparseL18csric0_hash_kernelILj256ELj64ELj16EdEEviPKiS2_PT2_S2_PiS2_S5_S5_d21rocsparse_index_base_.has_recursion, 0
	.set _ZN9rocsparseL18csric0_hash_kernelILj256ELj64ELj16EdEEviPKiS2_PT2_S2_PiS2_S5_S5_d21rocsparse_index_base_.has_indirect_call, 0
	.section	.AMDGPU.csdata,"",@progbits
; Kernel info:
; codeLenInByte = 2372
; TotalNumSgprs: 33
; NumVgprs: 39
; ScratchSize: 0
; MemoryBound: 0
; FloatMode: 240
; IeeeMode: 1
; LDSByteSize: 32768 bytes/workgroup (compile time only)
; SGPRBlocks: 0
; VGPRBlocks: 14
; NumSGPRsForWavesPerEU: 33
; NumVGPRsForWavesPerEU: 113
; Occupancy: 8
; WaveLimiterHint : 1
; COMPUTE_PGM_RSRC2:SCRATCH_EN: 0
; COMPUTE_PGM_RSRC2:USER_SGPR: 6
; COMPUTE_PGM_RSRC2:TRAP_HANDLER: 0
; COMPUTE_PGM_RSRC2:TGID_X_EN: 1
; COMPUTE_PGM_RSRC2:TGID_Y_EN: 0
; COMPUTE_PGM_RSRC2:TGID_Z_EN: 0
; COMPUTE_PGM_RSRC2:TIDIG_COMP_CNT: 0
	.section	.text._ZN9rocsparseL23csric0_binsearch_kernelILj256ELj64ELb0EdEEviPKiS2_PT2_S2_PiS2_S5_S5_d21rocsparse_index_base_,"axG",@progbits,_ZN9rocsparseL23csric0_binsearch_kernelILj256ELj64ELb0EdEEviPKiS2_PT2_S2_PiS2_S5_S5_d21rocsparse_index_base_,comdat
	.globl	_ZN9rocsparseL23csric0_binsearch_kernelILj256ELj64ELb0EdEEviPKiS2_PT2_S2_PiS2_S5_S5_d21rocsparse_index_base_ ; -- Begin function _ZN9rocsparseL23csric0_binsearch_kernelILj256ELj64ELb0EdEEviPKiS2_PT2_S2_PiS2_S5_S5_d21rocsparse_index_base_
	.p2align	8
	.type	_ZN9rocsparseL23csric0_binsearch_kernelILj256ELj64ELb0EdEEviPKiS2_PT2_S2_PiS2_S5_S5_d21rocsparse_index_base_,@function
_ZN9rocsparseL23csric0_binsearch_kernelILj256ELj64ELb0EdEEviPKiS2_PT2_S2_PiS2_S5_S5_d21rocsparse_index_base_: ; @_ZN9rocsparseL23csric0_binsearch_kernelILj256ELj64ELb0EdEEviPKiS2_PT2_S2_PiS2_S5_S5_d21rocsparse_index_base_
; %bb.0:
	s_load_dword s0, s[4:5], 0x0
	v_lshrrev_b32_e32 v1, 6, v0
	s_lshl_b32 s1, s6, 2
	v_and_or_b32 v1, 0x3fffffc, s1, v1
	s_waitcnt lgkmcnt(0)
	v_cmp_gt_i32_e32 vcc_lo, s0, v1
	s_and_saveexec_b32 s0, vcc_lo
	s_cbranch_execz .LBB25_47
; %bb.1:
	s_load_dwordx8 s[8:15], s[4:5], 0x18
	v_lshlrev_b32_e32 v1, 2, v1
	v_and_b32_e32 v0, 63, v0
	s_mov_b32 s20, exec_lo
	s_waitcnt lgkmcnt(0)
	global_load_dword v3, v1, s[14:15]
	s_load_dwordx2 s[14:15], s[4:5], 0x8
	s_waitcnt vmcnt(0)
	v_ashrrev_i32_e32 v4, 31, v3
	v_lshlrev_b64 v[1:2], 2, v[3:4]
	s_waitcnt lgkmcnt(0)
	v_add_co_u32 v8, vcc_lo, s14, v1
	v_add_co_ci_u32_e64 v9, null, s15, v2, vcc_lo
	v_add_co_u32 v4, vcc_lo, s10, v1
	v_add_co_ci_u32_e64 v5, null, s11, v2, vcc_lo
	global_load_dword v6, v[8:9], off
	global_load_dword v4, v[4:5], off
	s_clause 0x2
	s_load_dword s3, s[4:5], 0x50
	s_load_dwordx4 s[16:19], s[4:5], 0x38
	s_load_dwordx2 s[6:7], s[4:5], 0x48
	s_waitcnt vmcnt(1) lgkmcnt(0)
	v_subrev_nc_u32_e32 v5, s3, v6
	v_mov_b32_e32 v6, 0
	v_mov_b32_e32 v7, 0
	s_waitcnt vmcnt(0)
	v_cmpx_lt_i32_e64 v5, v4
	s_cbranch_execz .LBB25_34
; %bb.2:
	global_load_dword v8, v[8:9], off offset:4
	s_load_dwordx2 s[4:5], s[4:5], 0x10
	v_mov_b32_e32 v6, 0
	v_add_nc_u32_e32 v22, -1, v4
	v_cmp_eq_u32_e64 s0, 0, v0
	v_subrev_nc_u32_e32 v23, s3, v0
	v_cmp_eq_u32_e64 s1, 63, v0
	v_mov_b32_e32 v7, 0
	v_mov_b32_e32 v24, 0
	v_mbcnt_lo_u32_b32 v25, -1, 0
	s_mov_b32 s21, 0
	s_waitcnt vmcnt(0)
	v_xad_u32 v26, s3, -1, v8
	v_mov_b32_e32 v8, v5
	s_branch .LBB25_5
.LBB25_3:                               ;   in Loop: Header=BB25_5 Depth=1
	s_or_b32 exec_lo, exec_lo, s23
.LBB25_4:                               ;   in Loop: Header=BB25_5 Depth=1
	s_or_b32 exec_lo, exec_lo, s22
	v_add_nc_u32_e32 v8, 1, v8
	s_xor_b32 s2, s2, -1
	v_cmp_ge_i32_e32 vcc_lo, v8, v4
	s_or_b32 s2, s2, vcc_lo
	s_and_b32 s2, exec_lo, s2
	s_or_b32 s21, s2, s21
	s_andn2_b32 exec_lo, exec_lo, s21
	s_cbranch_execz .LBB25_33
.LBB25_5:                               ; =>This Loop Header: Depth=1
                                        ;     Child Loop BB25_7 Depth 2
                                        ;     Child Loop BB25_11 Depth 2
	;; [unrolled: 1-line block ×4, first 2 shown]
                                        ;       Child Loop BB25_26 Depth 3
	v_ashrrev_i32_e32 v9, 31, v8
	s_mov_b32 s2, exec_lo
	v_lshlrev_b64 v[10:11], 2, v[8:9]
	v_lshlrev_b64 v[12:13], 3, v[8:9]
	s_waitcnt lgkmcnt(0)
	v_add_co_u32 v10, vcc_lo, s4, v10
	v_add_co_ci_u32_e64 v11, null, s5, v11, vcc_lo
	v_add_co_u32 v9, vcc_lo, s8, v12
	global_load_dword v17, v[10:11], off
	s_waitcnt vmcnt(0)
	v_subrev_nc_u32_e32 v10, s3, v17
	v_ashrrev_i32_e32 v11, 31, v10
	v_lshlrev_b64 v[14:15], 2, v[10:11]
	v_add_co_ci_u32_e64 v10, null, s9, v13, vcc_lo
	v_add_co_u32 v18, vcc_lo, s14, v14
	v_add_co_ci_u32_e64 v19, null, s15, v15, vcc_lo
	v_add_co_u32 v20, vcc_lo, s10, v14
	;; [unrolled: 2-line block ×3, first 2 shown]
	v_add_co_ci_u32_e64 v14, null, s13, v15, vcc_lo
	global_load_dwordx2 v[11:12], v[9:10], off
	global_load_dword v18, v[18:19], off
	global_load_dword v15, v[20:21], off
	global_load_dword v16, v[13:14], off glc dlc
	s_waitcnt vmcnt(0)
	v_cmpx_eq_u32_e32 0, v16
	s_cbranch_execz .LBB25_8
; %bb.6:                                ;   in Loop: Header=BB25_5 Depth=1
	s_mov_b32 s22, 0
.LBB25_7:                               ;   Parent Loop BB25_5 Depth=1
                                        ; =>  This Inner Loop Header: Depth=2
	global_load_dword v16, v[13:14], off glc dlc
	s_waitcnt vmcnt(0)
	v_cmp_ne_u32_e32 vcc_lo, 0, v16
	s_or_b32 s22, vcc_lo, s22
	s_andn2_b32 exec_lo, exec_lo, s22
	s_cbranch_execnz .LBB25_7
.LBB25_8:                               ;   in Loop: Header=BB25_5 Depth=1
	s_or_b32 exec_lo, exec_lo, s2
	v_cmp_eq_u32_e32 vcc_lo, -1, v15
	buffer_gl1_inv
	buffer_gl0_inv
	s_mov_b32 s22, exec_lo
	v_cndmask_b32_e32 v15, v15, v22, vcc_lo
	v_ashrrev_i32_e32 v16, 31, v15
	v_lshlrev_b64 v[13:14], 3, v[15:16]
	v_add_co_u32 v13, vcc_lo, s8, v13
	v_add_co_ci_u32_e64 v14, null, s9, v14, vcc_lo
	global_load_dwordx2 v[13:14], v[13:14], off
	s_waitcnt vmcnt(0)
	v_cmp_neq_f64_e64 s2, 0, v[13:14]
	v_cmpx_eq_f64_e32 0, v[13:14]
	s_xor_b32 s22, exec_lo, s22
	s_cbranch_execz .LBB25_15
; %bb.9:                                ;   in Loop: Header=BB25_5 Depth=1
	s_and_saveexec_b32 s23, s0
	s_cbranch_execz .LBB25_14
; %bb.10:                               ;   in Loop: Header=BB25_5 Depth=1
	s_mov_b32 s25, exec_lo
	s_brev_b32 s24, -2
.LBB25_11:                              ;   Parent Loop BB25_5 Depth=1
                                        ; =>  This Inner Loop Header: Depth=2
	s_ff1_i32_b32 s26, s25
	v_readlane_b32 s27, v17, s26
	s_lshl_b32 s26, 1, s26
	s_andn2_b32 s25, s25, s26
	s_min_i32 s24, s24, s27
	s_cmp_lg_u32 s25, 0
	s_cbranch_scc1 .LBB25_11
; %bb.12:                               ;   in Loop: Header=BB25_5 Depth=1
	v_mbcnt_lo_u32_b32 v9, exec_lo, 0
	s_mov_b32 s25, exec_lo
	v_cmpx_eq_u32_e32 0, v9
	s_xor_b32 s25, exec_lo, s25
	s_cbranch_execz .LBB25_14
; %bb.13:                               ;   in Loop: Header=BB25_5 Depth=1
	v_mov_b32_e32 v9, s24
	global_atomic_smin v24, v9, s[16:17]
.LBB25_14:                              ;   in Loop: Header=BB25_5 Depth=1
	s_or_b32 exec_lo, exec_lo, s23
                                        ; implicit-def: $vgpr13_vgpr14
                                        ; implicit-def: $vgpr11_vgpr12
                                        ; implicit-def: $vgpr9_vgpr10
                                        ; implicit-def: $vgpr18
                                        ; implicit-def: $vgpr15
                                        ; implicit-def: $vgpr17
.LBB25_15:                              ;   in Loop: Header=BB25_5 Depth=1
	s_andn2_saveexec_b32 s22, s22
	s_cbranch_execz .LBB25_4
; %bb.16:                               ;   in Loop: Header=BB25_5 Depth=1
	v_cmp_ge_f64_e32 vcc_lo, s[6:7], v[13:14]
	s_and_b32 s24, s0, vcc_lo
	s_and_saveexec_b32 s23, s24
	s_cbranch_execz .LBB25_21
; %bb.17:                               ;   in Loop: Header=BB25_5 Depth=1
	s_mov_b32 s25, exec_lo
	s_brev_b32 s24, -2
.LBB25_18:                              ;   Parent Loop BB25_5 Depth=1
                                        ; =>  This Inner Loop Header: Depth=2
	s_ff1_i32_b32 s26, s25
	v_readlane_b32 s27, v17, s26
	s_lshl_b32 s26, 1, s26
	s_andn2_b32 s25, s25, s26
	s_min_i32 s24, s24, s27
	s_cmp_lg_u32 s25, 0
	s_cbranch_scc1 .LBB25_18
; %bb.19:                               ;   in Loop: Header=BB25_5 Depth=1
	v_mbcnt_lo_u32_b32 v16, exec_lo, 0
	s_mov_b32 s25, exec_lo
	v_cmpx_eq_u32_e32 0, v16
	s_xor_b32 s25, exec_lo, s25
	s_cbranch_execz .LBB25_21
; %bb.20:                               ;   in Loop: Header=BB25_5 Depth=1
	v_mov_b32_e32 v16, s24
	global_atomic_smin v24, v16, s[18:19]
.LBB25_21:                              ;   in Loop: Header=BB25_5 Depth=1
	s_or_b32 exec_lo, exec_lo, s23
	v_mov_b32_e32 v16, 0
	v_add_nc_u32_e32 v18, v23, v18
	v_mov_b32_e32 v17, 0
	s_mov_b32 s23, exec_lo
	v_cmpx_lt_i32_e64 v18, v15
	s_cbranch_execz .LBB25_31
; %bb.22:                               ;   in Loop: Header=BB25_5 Depth=1
	v_mov_b32_e32 v16, 0
	v_mov_b32_e32 v17, 0
	v_mov_b32_e32 v27, v5
	s_mov_b32 s24, 0
	s_branch .LBB25_24
.LBB25_23:                              ;   in Loop: Header=BB25_24 Depth=2
	s_or_b32 exec_lo, exec_lo, s25
	v_add_nc_u32_e32 v18, 64, v18
	v_cmp_ge_i32_e32 vcc_lo, v18, v15
	s_or_b32 s24, vcc_lo, s24
	s_andn2_b32 exec_lo, exec_lo, s24
	s_cbranch_execz .LBB25_30
.LBB25_24:                              ;   Parent Loop BB25_5 Depth=1
                                        ; =>  This Loop Header: Depth=2
                                        ;       Child Loop BB25_26 Depth 3
	v_add_nc_u32_e32 v19, v27, v26
	s_mov_b32 s25, exec_lo
	v_ashrrev_i32_e32 v20, 1, v19
	v_ashrrev_i32_e32 v19, 31, v18
	;; [unrolled: 1-line block ×3, first 2 shown]
	v_lshlrev_b64 v[28:29], 2, v[18:19]
	v_lshlrev_b64 v[30:31], 2, v[20:21]
	v_add_co_u32 v28, vcc_lo, s4, v28
	v_add_co_ci_u32_e64 v29, null, s5, v29, vcc_lo
	v_add_co_u32 v30, vcc_lo, s4, v30
	v_add_co_ci_u32_e64 v31, null, s5, v31, vcc_lo
	s_clause 0x1
	global_load_dword v28, v[28:29], off
	global_load_dword v29, v[30:31], off
	v_cmpx_lt_i32_e64 v27, v26
	s_cbranch_execz .LBB25_28
; %bb.25:                               ;   in Loop: Header=BB25_24 Depth=2
	v_mov_b32_e32 v30, v26
	s_mov_b32 s26, 0
	.p2align	6
.LBB25_26:                              ;   Parent Loop BB25_5 Depth=1
                                        ;     Parent Loop BB25_24 Depth=2
                                        ; =>    This Inner Loop Header: Depth=3
	v_add_nc_u32_e32 v21, 1, v20
	s_waitcnt vmcnt(0)
	v_cmp_lt_i32_e32 vcc_lo, v29, v28
	v_cndmask_b32_e32 v27, v27, v21, vcc_lo
	v_cndmask_b32_e32 v30, v20, v30, vcc_lo
	v_add_nc_u32_e32 v20, v30, v27
	v_ashrrev_i32_e32 v20, 1, v20
	v_ashrrev_i32_e32 v21, 31, v20
	v_lshlrev_b64 v[31:32], 2, v[20:21]
	v_add_co_u32 v31, vcc_lo, s4, v31
	v_add_co_ci_u32_e64 v32, null, s5, v32, vcc_lo
	v_cmp_ge_i32_e32 vcc_lo, v27, v30
	global_load_dword v29, v[31:32], off
	s_or_b32 s26, vcc_lo, s26
	s_andn2_b32 exec_lo, exec_lo, s26
	s_cbranch_execnz .LBB25_26
; %bb.27:                               ;   in Loop: Header=BB25_24 Depth=2
	s_or_b32 exec_lo, exec_lo, s26
.LBB25_28:                              ;   in Loop: Header=BB25_24 Depth=2
	s_or_b32 exec_lo, exec_lo, s25
	s_mov_b32 s25, exec_lo
	s_waitcnt vmcnt(0)
	v_cmpx_eq_u32_e64 v29, v28
	s_cbranch_execz .LBB25_23
; %bb.29:                               ;   in Loop: Header=BB25_24 Depth=2
	v_lshlrev_b64 v[28:29], 3, v[18:19]
	v_lshlrev_b64 v[19:20], 3, v[20:21]
	v_add_co_u32 v28, vcc_lo, s8, v28
	v_add_co_ci_u32_e64 v29, null, s9, v29, vcc_lo
	v_add_co_u32 v19, vcc_lo, s8, v19
	v_add_co_ci_u32_e64 v20, null, s9, v20, vcc_lo
	s_clause 0x1
	global_load_dwordx2 v[28:29], v[28:29], off
	global_load_dwordx2 v[19:20], v[19:20], off
	s_waitcnt vmcnt(0)
	v_fma_f64 v[16:17], v[28:29], v[19:20], v[16:17]
	s_branch .LBB25_23
.LBB25_30:                              ;   in Loop: Header=BB25_5 Depth=1
	s_or_b32 exec_lo, exec_lo, s24
.LBB25_31:                              ;   in Loop: Header=BB25_5 Depth=1
	s_or_b32 exec_lo, exec_lo, s23
	v_or_b32_e32 v15, 32, v25
	v_cmp_gt_i32_e32 vcc_lo, 32, v15
	v_cndmask_b32_e32 v15, v25, v15, vcc_lo
	v_lshlrev_b32_e32 v15, 2, v15
	ds_bpermute_b32 v18, v15, v16
	ds_bpermute_b32 v19, v15, v17
	s_waitcnt lgkmcnt(0)
	v_add_f64 v[15:16], v[16:17], v[18:19]
	v_xor_b32_e32 v17, 16, v25
	v_cmp_gt_i32_e32 vcc_lo, 32, v17
	v_cndmask_b32_e32 v17, v25, v17, vcc_lo
	v_lshlrev_b32_e32 v18, 2, v17
	ds_bpermute_b32 v17, v18, v15
	ds_bpermute_b32 v18, v18, v16
	s_waitcnt lgkmcnt(0)
	v_add_f64 v[15:16], v[15:16], v[17:18]
	v_xor_b32_e32 v17, 8, v25
	;; [unrolled: 8-line block ×5, first 2 shown]
	v_cmp_gt_i32_e32 vcc_lo, 32, v17
	v_cndmask_b32_e32 v17, v25, v17, vcc_lo
	v_lshlrev_b32_e32 v18, 2, v17
	ds_bpermute_b32 v17, v18, v15
	ds_bpermute_b32 v18, v18, v16
	s_and_saveexec_b32 s23, s1
	s_cbranch_execz .LBB25_3
; %bb.32:                               ;   in Loop: Header=BB25_5 Depth=1
	v_div_scale_f64 v[19:20], null, v[13:14], v[13:14], 1.0
	v_div_scale_f64 v[31:32], vcc_lo, 1.0, v[13:14], 1.0
	s_waitcnt lgkmcnt(0)
	v_add_f64 v[15:16], v[15:16], v[17:18]
	v_rcp_f64_e32 v[27:28], v[19:20]
	v_add_f64 v[11:12], v[11:12], -v[15:16]
	v_fma_f64 v[29:30], -v[19:20], v[27:28], 1.0
	v_fma_f64 v[27:28], v[27:28], v[29:30], v[27:28]
	v_fma_f64 v[29:30], -v[19:20], v[27:28], 1.0
	v_fma_f64 v[27:28], v[27:28], v[29:30], v[27:28]
	v_mul_f64 v[29:30], v[31:32], v[27:28]
	v_fma_f64 v[19:20], -v[19:20], v[29:30], v[31:32]
	v_div_fmas_f64 v[19:20], v[19:20], v[27:28], v[29:30]
	v_div_fixup_f64 v[13:14], v[19:20], v[13:14], 1.0
	v_mul_f64 v[11:12], v[13:14], v[11:12]
	v_fma_f64 v[6:7], v[11:12], v[11:12], v[6:7]
	global_store_dwordx2 v[9:10], v[11:12], off
	s_branch .LBB25_3
.LBB25_33:
	s_or_b32 exec_lo, exec_lo, s21
.LBB25_34:
	s_or_b32 exec_lo, exec_lo, s20
	v_cmp_eq_u32_e32 vcc_lo, 63, v0
	v_cmp_lt_i32_e64 s0, -1, v4
	s_and_b32 s0, vcc_lo, s0
	s_and_saveexec_b32 s2, s0
	s_cbranch_execz .LBB25_45
; %bb.35:
	v_mov_b32_e32 v5, 0
	v_mul_f64 v[10:11], s[6:7], s[6:7]
	v_add_nc_u32_e32 v0, s3, v3
	s_mov_b32 s1, exec_lo
	v_lshlrev_b64 v[4:5], 3, v[4:5]
	v_add_co_u32 v4, s0, s8, v4
	v_add_co_ci_u32_e64 v5, null, s9, v5, s0
	global_load_dwordx2 v[8:9], v[4:5], off
	s_waitcnt vmcnt(0)
	v_add_f64 v[6:7], v[8:9], -v[6:7]
	v_cmpx_le_f64_e32 v[6:7], v[10:11]
	s_cbranch_execz .LBB25_40
; %bb.36:
	s_mov_b32 s0, exec_lo
	s_brev_b32 s3, -2
.LBB25_37:                              ; =>This Inner Loop Header: Depth=1
	s_ff1_i32_b32 s4, s0
	v_readlane_b32 s5, v0, s4
	s_lshl_b32 s4, 1, s4
	s_andn2_b32 s0, s0, s4
	s_min_i32 s3, s3, s5
	s_cmp_lg_u32 s0, 0
	s_cbranch_scc1 .LBB25_37
; %bb.38:
	v_mbcnt_lo_u32_b32 v3, exec_lo, 0
	s_mov_b32 s4, exec_lo
	v_cmpx_eq_u32_e32 0, v3
	s_xor_b32 s4, exec_lo, s4
	s_cbranch_execz .LBB25_40
; %bb.39:
	v_mov_b32_e32 v3, 0
	v_mov_b32_e32 v8, s3
	global_atomic_smin v3, v8, s[18:19]
.LBB25_40:
	s_or_b32 exec_lo, exec_lo, s1
	v_cmp_gt_f64_e64 s0, 0, v[6:7]
	v_xor_b32_e32 v3, 0x80000000, v7
	v_mov_b32_e32 v8, v6
	v_cmp_eq_f64_e64 s1, 0, v[6:7]
	v_cndmask_b32_e64 v9, v7, v3, s0
	v_cmp_gt_f64_e64 s0, 0x10000000, v[8:9]
	v_cndmask_b32_e64 v3, 0, 0x100, s0
	v_ldexp_f64 v[8:9], v[8:9], v3
	v_cndmask_b32_e64 v3, 0, 0xffffff80, s0
	v_rsq_f64_e32 v[10:11], v[8:9]
	v_cmp_class_f64_e64 s0, v[8:9], 0x260
	v_mul_f64 v[12:13], v[8:9], v[10:11]
	v_mul_f64 v[10:11], v[10:11], 0.5
	v_fma_f64 v[14:15], -v[10:11], v[12:13], 0.5
	v_fma_f64 v[12:13], v[12:13], v[14:15], v[12:13]
	v_fma_f64 v[10:11], v[10:11], v[14:15], v[10:11]
	v_fma_f64 v[14:15], -v[12:13], v[12:13], v[8:9]
	v_fma_f64 v[12:13], v[14:15], v[10:11], v[12:13]
	v_fma_f64 v[14:15], -v[12:13], v[12:13], v[8:9]
	v_fma_f64 v[10:11], v[14:15], v[10:11], v[12:13]
	v_ldexp_f64 v[10:11], v[10:11], v3
	v_cndmask_b32_e64 v7, v11, v9, s0
	v_cndmask_b32_e64 v6, v10, v8, s0
	global_store_dwordx2 v[4:5], v[6:7], off
	s_and_b32 exec_lo, exec_lo, s1
	s_cbranch_execz .LBB25_45
; %bb.41:
	s_mov_b32 s0, exec_lo
	s_brev_b32 s1, -2
.LBB25_42:                              ; =>This Inner Loop Header: Depth=1
	s_ff1_i32_b32 s3, s0
	v_readlane_b32 s4, v0, s3
	s_lshl_b32 s3, 1, s3
	s_andn2_b32 s0, s0, s3
	s_min_i32 s1, s1, s4
	s_cmp_lg_u32 s0, 0
	s_cbranch_scc1 .LBB25_42
; %bb.43:
	v_mbcnt_lo_u32_b32 v0, exec_lo, 0
	s_mov_b32 s3, exec_lo
	v_cmpx_eq_u32_e32 0, v0
	s_xor_b32 s3, exec_lo, s3
	s_cbranch_execz .LBB25_45
; %bb.44:
	v_mov_b32_e32 v0, 0
	v_mov_b32_e32 v3, s1
	global_atomic_smin v0, v3, s[16:17]
.LBB25_45:
	s_or_b32 exec_lo, exec_lo, s2
	s_and_b32 exec_lo, exec_lo, vcc_lo
	s_cbranch_execz .LBB25_47
; %bb.46:
	v_add_co_u32 v0, vcc_lo, s12, v1
	v_add_co_ci_u32_e64 v1, null, s13, v2, vcc_lo
	v_mov_b32_e32 v2, 1
	s_waitcnt lgkmcnt(0)
	s_waitcnt_vscnt null, 0x0
	global_store_dword v[0:1], v2, off
.LBB25_47:
	s_endpgm
	.section	.rodata,"a",@progbits
	.p2align	6, 0x0
	.amdhsa_kernel _ZN9rocsparseL23csric0_binsearch_kernelILj256ELj64ELb0EdEEviPKiS2_PT2_S2_PiS2_S5_S5_d21rocsparse_index_base_
		.amdhsa_group_segment_fixed_size 0
		.amdhsa_private_segment_fixed_size 0
		.amdhsa_kernarg_size 84
		.amdhsa_user_sgpr_count 6
		.amdhsa_user_sgpr_private_segment_buffer 1
		.amdhsa_user_sgpr_dispatch_ptr 0
		.amdhsa_user_sgpr_queue_ptr 0
		.amdhsa_user_sgpr_kernarg_segment_ptr 1
		.amdhsa_user_sgpr_dispatch_id 0
		.amdhsa_user_sgpr_flat_scratch_init 0
		.amdhsa_user_sgpr_private_segment_size 0
		.amdhsa_wavefront_size32 1
		.amdhsa_uses_dynamic_stack 0
		.amdhsa_system_sgpr_private_segment_wavefront_offset 0
		.amdhsa_system_sgpr_workgroup_id_x 1
		.amdhsa_system_sgpr_workgroup_id_y 0
		.amdhsa_system_sgpr_workgroup_id_z 0
		.amdhsa_system_sgpr_workgroup_info 0
		.amdhsa_system_vgpr_workitem_id 0
		.amdhsa_next_free_vgpr 33
		.amdhsa_next_free_sgpr 28
		.amdhsa_reserve_vcc 1
		.amdhsa_reserve_flat_scratch 0
		.amdhsa_float_round_mode_32 0
		.amdhsa_float_round_mode_16_64 0
		.amdhsa_float_denorm_mode_32 3
		.amdhsa_float_denorm_mode_16_64 3
		.amdhsa_dx10_clamp 1
		.amdhsa_ieee_mode 1
		.amdhsa_fp16_overflow 0
		.amdhsa_workgroup_processor_mode 1
		.amdhsa_memory_ordered 1
		.amdhsa_forward_progress 1
		.amdhsa_shared_vgpr_count 0
		.amdhsa_exception_fp_ieee_invalid_op 0
		.amdhsa_exception_fp_denorm_src 0
		.amdhsa_exception_fp_ieee_div_zero 0
		.amdhsa_exception_fp_ieee_overflow 0
		.amdhsa_exception_fp_ieee_underflow 0
		.amdhsa_exception_fp_ieee_inexact 0
		.amdhsa_exception_int_div_zero 0
	.end_amdhsa_kernel
	.section	.text._ZN9rocsparseL23csric0_binsearch_kernelILj256ELj64ELb0EdEEviPKiS2_PT2_S2_PiS2_S5_S5_d21rocsparse_index_base_,"axG",@progbits,_ZN9rocsparseL23csric0_binsearch_kernelILj256ELj64ELb0EdEEviPKiS2_PT2_S2_PiS2_S5_S5_d21rocsparse_index_base_,comdat
.Lfunc_end25:
	.size	_ZN9rocsparseL23csric0_binsearch_kernelILj256ELj64ELb0EdEEviPKiS2_PT2_S2_PiS2_S5_S5_d21rocsparse_index_base_, .Lfunc_end25-_ZN9rocsparseL23csric0_binsearch_kernelILj256ELj64ELb0EdEEviPKiS2_PT2_S2_PiS2_S5_S5_d21rocsparse_index_base_
                                        ; -- End function
	.set _ZN9rocsparseL23csric0_binsearch_kernelILj256ELj64ELb0EdEEviPKiS2_PT2_S2_PiS2_S5_S5_d21rocsparse_index_base_.num_vgpr, 33
	.set _ZN9rocsparseL23csric0_binsearch_kernelILj256ELj64ELb0EdEEviPKiS2_PT2_S2_PiS2_S5_S5_d21rocsparse_index_base_.num_agpr, 0
	.set _ZN9rocsparseL23csric0_binsearch_kernelILj256ELj64ELb0EdEEviPKiS2_PT2_S2_PiS2_S5_S5_d21rocsparse_index_base_.numbered_sgpr, 28
	.set _ZN9rocsparseL23csric0_binsearch_kernelILj256ELj64ELb0EdEEviPKiS2_PT2_S2_PiS2_S5_S5_d21rocsparse_index_base_.num_named_barrier, 0
	.set _ZN9rocsparseL23csric0_binsearch_kernelILj256ELj64ELb0EdEEviPKiS2_PT2_S2_PiS2_S5_S5_d21rocsparse_index_base_.private_seg_size, 0
	.set _ZN9rocsparseL23csric0_binsearch_kernelILj256ELj64ELb0EdEEviPKiS2_PT2_S2_PiS2_S5_S5_d21rocsparse_index_base_.uses_vcc, 1
	.set _ZN9rocsparseL23csric0_binsearch_kernelILj256ELj64ELb0EdEEviPKiS2_PT2_S2_PiS2_S5_S5_d21rocsparse_index_base_.uses_flat_scratch, 0
	.set _ZN9rocsparseL23csric0_binsearch_kernelILj256ELj64ELb0EdEEviPKiS2_PT2_S2_PiS2_S5_S5_d21rocsparse_index_base_.has_dyn_sized_stack, 0
	.set _ZN9rocsparseL23csric0_binsearch_kernelILj256ELj64ELb0EdEEviPKiS2_PT2_S2_PiS2_S5_S5_d21rocsparse_index_base_.has_recursion, 0
	.set _ZN9rocsparseL23csric0_binsearch_kernelILj256ELj64ELb0EdEEviPKiS2_PT2_S2_PiS2_S5_S5_d21rocsparse_index_base_.has_indirect_call, 0
	.section	.AMDGPU.csdata,"",@progbits
; Kernel info:
; codeLenInByte = 2144
; TotalNumSgprs: 30
; NumVgprs: 33
; ScratchSize: 0
; MemoryBound: 1
; FloatMode: 240
; IeeeMode: 1
; LDSByteSize: 0 bytes/workgroup (compile time only)
; SGPRBlocks: 0
; VGPRBlocks: 4
; NumSGPRsForWavesPerEU: 30
; NumVGPRsForWavesPerEU: 33
; Occupancy: 16
; WaveLimiterHint : 1
; COMPUTE_PGM_RSRC2:SCRATCH_EN: 0
; COMPUTE_PGM_RSRC2:USER_SGPR: 6
; COMPUTE_PGM_RSRC2:TRAP_HANDLER: 0
; COMPUTE_PGM_RSRC2:TGID_X_EN: 1
; COMPUTE_PGM_RSRC2:TGID_Y_EN: 0
; COMPUTE_PGM_RSRC2:TGID_Z_EN: 0
; COMPUTE_PGM_RSRC2:TIDIG_COMP_CNT: 0
	.section	.text._ZN9rocsparseL23csric0_binsearch_kernelILj256ELj64ELb1E21rocsparse_complex_numIfEEEviPKiS4_PT2_S4_PiS4_S7_S7_d21rocsparse_index_base_,"axG",@progbits,_ZN9rocsparseL23csric0_binsearch_kernelILj256ELj64ELb1E21rocsparse_complex_numIfEEEviPKiS4_PT2_S4_PiS4_S7_S7_d21rocsparse_index_base_,comdat
	.globl	_ZN9rocsparseL23csric0_binsearch_kernelILj256ELj64ELb1E21rocsparse_complex_numIfEEEviPKiS4_PT2_S4_PiS4_S7_S7_d21rocsparse_index_base_ ; -- Begin function _ZN9rocsparseL23csric0_binsearch_kernelILj256ELj64ELb1E21rocsparse_complex_numIfEEEviPKiS4_PT2_S4_PiS4_S7_S7_d21rocsparse_index_base_
	.p2align	8
	.type	_ZN9rocsparseL23csric0_binsearch_kernelILj256ELj64ELb1E21rocsparse_complex_numIfEEEviPKiS4_PT2_S4_PiS4_S7_S7_d21rocsparse_index_base_,@function
_ZN9rocsparseL23csric0_binsearch_kernelILj256ELj64ELb1E21rocsparse_complex_numIfEEEviPKiS4_PT2_S4_PiS4_S7_S7_d21rocsparse_index_base_: ; @_ZN9rocsparseL23csric0_binsearch_kernelILj256ELj64ELb1E21rocsparse_complex_numIfEEEviPKiS4_PT2_S4_PiS4_S7_S7_d21rocsparse_index_base_
; %bb.0:
	s_load_dword s0, s[4:5], 0x0
	v_lshrrev_b32_e32 v1, 6, v0
	s_lshl_b32 s1, s6, 2
	v_and_or_b32 v1, 0x3fffffc, s1, v1
	s_waitcnt lgkmcnt(0)
	v_cmp_gt_i32_e32 vcc_lo, s0, v1
	s_and_saveexec_b32 s0, vcc_lo
	s_cbranch_execz .LBB26_56
; %bb.1:
	s_load_dwordx8 s[8:15], s[4:5], 0x18
	v_lshlrev_b32_e32 v1, 2, v1
	v_and_b32_e32 v17, 63, v0
	v_mov_b32_e32 v0, 0
	v_mov_b32_e32 v18, 0
	s_mov_b32 s21, exec_lo
	s_waitcnt lgkmcnt(0)
	global_load_dword v3, v1, s[14:15]
	s_load_dwordx2 s[14:15], s[4:5], 0x8
	s_waitcnt vmcnt(0)
	v_ashrrev_i32_e32 v4, 31, v3
	v_lshlrev_b64 v[1:2], 2, v[3:4]
	s_waitcnt lgkmcnt(0)
	v_add_co_u32 v5, vcc_lo, s14, v1
	v_add_co_ci_u32_e64 v6, null, s15, v2, vcc_lo
	v_add_co_u32 v7, vcc_lo, s10, v1
	v_add_co_ci_u32_e64 v8, null, s11, v2, vcc_lo
	global_load_dword v9, v[5:6], off
	global_load_dword v4, v[7:8], off
	s_clause 0x2
	s_load_dword s20, s[4:5], 0x50
	s_load_dwordx4 s[16:19], s[4:5], 0x38
	s_load_dwordx2 s[6:7], s[4:5], 0x48
	s_waitcnt vmcnt(1) lgkmcnt(0)
	v_subrev_nc_u32_e32 v19, s20, v9
	s_waitcnt vmcnt(0)
	v_cmpx_lt_i32_e64 v19, v4
	s_cbranch_execz .LBB26_37
; %bb.2:
	global_load_dword v6, v[5:6], off offset:4
	s_load_dwordx2 s[4:5], s[4:5], 0x10
	v_add_nc_u32_e32 v20, -1, v4
	v_cmp_eq_u32_e64 s0, 0, v17
	v_subrev_nc_u32_e32 v21, s20, v17
	v_cmp_eq_u32_e64 s1, 63, v17
	v_mov_b32_e32 v22, 0
	v_mbcnt_lo_u32_b32 v23, -1, 0
	v_mov_b32_e32 v5, v19
	v_mov_b32_e32 v0, 0
	;; [unrolled: 1-line block ×3, first 2 shown]
	s_mov_b32 s22, 0
	s_waitcnt vmcnt(0)
	v_xad_u32 v24, s20, -1, v6
	s_branch .LBB26_5
.LBB26_3:                               ;   in Loop: Header=BB26_5 Depth=1
	s_or_b32 exec_lo, exec_lo, s23
.LBB26_4:                               ;   in Loop: Header=BB26_5 Depth=1
	s_or_b32 exec_lo, exec_lo, s2
	v_add_nc_u32_e32 v5, 1, v5
	v_cmp_ge_i32_e32 vcc_lo, v5, v4
	s_or_b32 s2, s3, vcc_lo
	s_and_b32 s2, exec_lo, s2
	s_or_b32 s22, s2, s22
	s_andn2_b32 exec_lo, exec_lo, s22
	s_cbranch_execz .LBB26_36
.LBB26_5:                               ; =>This Loop Header: Depth=1
                                        ;     Child Loop BB26_8 Depth 2
                                        ;       Child Loop BB26_9 Depth 3
                                        ;     Child Loop BB26_13 Depth 2
                                        ;     Child Loop BB26_21 Depth 2
	;; [unrolled: 1-line block ×3, first 2 shown]
                                        ;       Child Loop BB26_29 Depth 3
	v_ashrrev_i32_e32 v6, 31, v5
	s_mov_b32 s2, exec_lo
	v_lshlrev_b64 v[7:8], 2, v[5:6]
	v_lshlrev_b64 v[9:10], 3, v[5:6]
	s_waitcnt lgkmcnt(0)
	v_add_co_u32 v7, vcc_lo, s4, v7
	v_add_co_ci_u32_e64 v8, null, s5, v8, vcc_lo
	v_add_co_u32 v6, vcc_lo, s8, v9
	global_load_dword v14, v[7:8], off
	s_waitcnt vmcnt(0)
	v_subrev_nc_u32_e32 v7, s20, v14
	v_ashrrev_i32_e32 v8, 31, v7
	v_lshlrev_b64 v[11:12], 2, v[7:8]
	v_add_co_ci_u32_e64 v7, null, s9, v10, vcc_lo
	v_add_co_u32 v15, vcc_lo, s14, v11
	v_add_co_ci_u32_e64 v16, null, s15, v12, vcc_lo
	v_add_co_u32 v25, vcc_lo, s10, v11
	;; [unrolled: 2-line block ×3, first 2 shown]
	v_add_co_ci_u32_e64 v11, null, s13, v12, vcc_lo
	global_load_dwordx2 v[8:9], v[6:7], off
	global_load_dword v15, v[15:16], off
	global_load_dword v12, v[25:26], off
	global_load_dword v13, v[10:11], off glc dlc
	s_waitcnt vmcnt(0)
	v_cmpx_eq_u32_e32 0, v13
	s_cbranch_execz .LBB26_10
; %bb.6:                                ;   in Loop: Header=BB26_5 Depth=1
	s_mov_b32 s3, 0
	s_mov_b32 s23, 0
	s_branch .LBB26_8
	.p2align	6
.LBB26_7:                               ;   in Loop: Header=BB26_8 Depth=2
	global_load_dword v13, v[10:11], off glc dlc
	s_cmpk_lt_u32 s23, 0xf43
	s_cselect_b32 s24, -1, 0
	s_cmp_lg_u32 s24, 0
	s_addc_u32 s23, s23, 0
	s_waitcnt vmcnt(0)
	v_cmp_ne_u32_e32 vcc_lo, 0, v13
	s_or_b32 s3, vcc_lo, s3
	s_andn2_b32 exec_lo, exec_lo, s3
	s_cbranch_execz .LBB26_10
.LBB26_8:                               ;   Parent Loop BB26_5 Depth=1
                                        ; =>  This Loop Header: Depth=2
                                        ;       Child Loop BB26_9 Depth 3
	s_cmp_eq_u32 s23, 0
	s_mov_b32 s24, s23
	s_cbranch_scc1 .LBB26_7
.LBB26_9:                               ;   Parent Loop BB26_5 Depth=1
                                        ;     Parent Loop BB26_8 Depth=2
                                        ; =>    This Inner Loop Header: Depth=3
	s_add_i32 s24, s24, -1
	s_sleep 1
	s_cmp_eq_u32 s24, 0
	s_cbranch_scc0 .LBB26_9
	s_branch .LBB26_7
.LBB26_10:                              ;   in Loop: Header=BB26_5 Depth=1
	s_or_b32 exec_lo, exec_lo, s2
	v_cmp_eq_u32_e32 vcc_lo, -1, v12
	buffer_gl1_inv
	buffer_gl0_inv
	v_cndmask_b32_e32 v12, v12, v20, vcc_lo
	v_ashrrev_i32_e32 v13, 31, v12
	v_lshlrev_b64 v[10:11], 3, v[12:13]
	v_add_co_u32 v10, vcc_lo, s8, v10
	v_add_co_ci_u32_e64 v11, null, s9, v11, vcc_lo
	global_load_dwordx2 v[10:11], v[10:11], off
	s_waitcnt vmcnt(0)
	v_cmp_neq_f32_e64 s2, 0, v10
	v_cmp_neq_f32_e64 s3, 0, v11
	v_cmp_eq_f32_e32 vcc_lo, 0, v11
	s_or_b32 s2, s2, s3
	s_xor_b32 s3, s2, -1
	s_and_saveexec_b32 s2, s3
	s_xor_b32 s23, exec_lo, s2
	s_cbranch_execz .LBB26_17
; %bb.11:                               ;   in Loop: Header=BB26_5 Depth=1
	s_and_saveexec_b32 s24, s0
	s_cbranch_execz .LBB26_16
; %bb.12:                               ;   in Loop: Header=BB26_5 Depth=1
	s_mov_b32 s2, exec_lo
	s_brev_b32 s25, -2
.LBB26_13:                              ;   Parent Loop BB26_5 Depth=1
                                        ; =>  This Inner Loop Header: Depth=2
	s_ff1_i32_b32 s26, s2
	v_readlane_b32 s27, v14, s26
	s_lshl_b32 s26, 1, s26
	s_andn2_b32 s2, s2, s26
	s_min_i32 s25, s25, s27
	s_cmp_lg_u32 s2, 0
	s_cbranch_scc1 .LBB26_13
; %bb.14:                               ;   in Loop: Header=BB26_5 Depth=1
	v_mbcnt_lo_u32_b32 v6, exec_lo, 0
	s_mov_b32 s26, exec_lo
	v_cmpx_eq_u32_e32 0, v6
	s_xor_b32 s26, exec_lo, s26
	s_cbranch_execz .LBB26_16
; %bb.15:                               ;   in Loop: Header=BB26_5 Depth=1
	v_mov_b32_e32 v6, s25
	global_atomic_smin v22, v6, s[16:17]
.LBB26_16:                              ;   in Loop: Header=BB26_5 Depth=1
	s_or_b32 exec_lo, exec_lo, s24
                                        ; implicit-def: $vgpr10_vgpr11
                                        ; implicit-def: $vgpr8_vgpr9
                                        ; implicit-def: $vgpr6_vgpr7
                                        ; implicit-def: $vgpr15
                                        ; implicit-def: $vgpr12
                                        ; implicit-def: $vgpr14
.LBB26_17:                              ;   in Loop: Header=BB26_5 Depth=1
	s_andn2_saveexec_b32 s2, s23
	s_cbranch_execz .LBB26_4
; %bb.18:                               ;   in Loop: Header=BB26_5 Depth=1
	s_and_saveexec_b32 s23, vcc_lo
	s_cbranch_execz .LBB26_24
; %bb.19:                               ;   in Loop: Header=BB26_5 Depth=1
	v_cvt_f64_f32_e32 v[25:26], v10
	v_cmp_ge_f64_e32 vcc_lo, s[6:7], v[25:26]
	s_and_b32 s24, s0, vcc_lo
	s_and_b32 exec_lo, exec_lo, s24
	s_cbranch_execz .LBB26_24
; %bb.20:                               ;   in Loop: Header=BB26_5 Depth=1
	s_mov_b32 s25, exec_lo
	s_brev_b32 s24, -2
.LBB26_21:                              ;   Parent Loop BB26_5 Depth=1
                                        ; =>  This Inner Loop Header: Depth=2
	s_ff1_i32_b32 s26, s25
	v_readlane_b32 s27, v14, s26
	s_lshl_b32 s26, 1, s26
	s_andn2_b32 s25, s25, s26
	s_min_i32 s24, s24, s27
	s_cmp_lg_u32 s25, 0
	s_cbranch_scc1 .LBB26_21
; %bb.22:                               ;   in Loop: Header=BB26_5 Depth=1
	v_mbcnt_lo_u32_b32 v13, exec_lo, 0
	s_mov_b32 s25, exec_lo
	v_cmpx_eq_u32_e32 0, v13
	s_xor_b32 s25, exec_lo, s25
	s_cbranch_execz .LBB26_24
; %bb.23:                               ;   in Loop: Header=BB26_5 Depth=1
	v_mov_b32_e32 v13, s24
	global_atomic_smin v22, v13, s[18:19]
.LBB26_24:                              ;   in Loop: Header=BB26_5 Depth=1
	s_or_b32 exec_lo, exec_lo, s23
	v_add_nc_u32_e32 v13, v21, v15
	v_mov_b32_e32 v25, 0
	v_mov_b32_e32 v26, 0
	s_mov_b32 s23, exec_lo
	v_cmpx_lt_i32_e64 v13, v12
	s_cbranch_execz .LBB26_34
; %bb.25:                               ;   in Loop: Header=BB26_5 Depth=1
	v_mov_b32_e32 v25, 0
	v_mov_b32_e32 v27, v19
	;; [unrolled: 1-line block ×3, first 2 shown]
	s_mov_b32 s24, 0
	s_branch .LBB26_27
.LBB26_26:                              ;   in Loop: Header=BB26_27 Depth=2
	s_or_b32 exec_lo, exec_lo, s25
	v_add_nc_u32_e32 v13, 64, v13
	v_cmp_ge_i32_e32 vcc_lo, v13, v12
	s_or_b32 s24, vcc_lo, s24
	s_andn2_b32 exec_lo, exec_lo, s24
	s_cbranch_execz .LBB26_33
.LBB26_27:                              ;   Parent Loop BB26_5 Depth=1
                                        ; =>  This Loop Header: Depth=2
                                        ;       Child Loop BB26_29 Depth 3
	v_add_nc_u32_e32 v14, v27, v24
	s_mov_b32 s25, exec_lo
	v_ashrrev_i32_e32 v15, 1, v14
	v_ashrrev_i32_e32 v14, 31, v13
	;; [unrolled: 1-line block ×3, first 2 shown]
	v_lshlrev_b64 v[28:29], 2, v[13:14]
	v_lshlrev_b64 v[30:31], 2, v[15:16]
	v_add_co_u32 v28, vcc_lo, s4, v28
	v_add_co_ci_u32_e64 v29, null, s5, v29, vcc_lo
	v_add_co_u32 v30, vcc_lo, s4, v30
	v_add_co_ci_u32_e64 v31, null, s5, v31, vcc_lo
	s_clause 0x1
	global_load_dword v28, v[28:29], off
	global_load_dword v29, v[30:31], off
	v_cmpx_lt_i32_e64 v27, v24
	s_cbranch_execz .LBB26_31
; %bb.28:                               ;   in Loop: Header=BB26_27 Depth=2
	v_mov_b32_e32 v30, v24
	s_mov_b32 s26, 0
	.p2align	6
.LBB26_29:                              ;   Parent Loop BB26_5 Depth=1
                                        ;     Parent Loop BB26_27 Depth=2
                                        ; =>    This Inner Loop Header: Depth=3
	v_add_nc_u32_e32 v16, 1, v15
	s_waitcnt vmcnt(0)
	v_cmp_lt_i32_e32 vcc_lo, v29, v28
	v_cndmask_b32_e32 v30, v15, v30, vcc_lo
	v_cndmask_b32_e32 v27, v27, v16, vcc_lo
	v_add_nc_u32_e32 v15, v30, v27
	v_ashrrev_i32_e32 v15, 1, v15
	v_ashrrev_i32_e32 v16, 31, v15
	v_lshlrev_b64 v[31:32], 2, v[15:16]
	v_add_co_u32 v31, vcc_lo, s4, v31
	v_add_co_ci_u32_e64 v32, null, s5, v32, vcc_lo
	v_cmp_ge_i32_e32 vcc_lo, v27, v30
	global_load_dword v29, v[31:32], off
	s_or_b32 s26, vcc_lo, s26
	s_andn2_b32 exec_lo, exec_lo, s26
	s_cbranch_execnz .LBB26_29
; %bb.30:                               ;   in Loop: Header=BB26_27 Depth=2
	s_or_b32 exec_lo, exec_lo, s26
.LBB26_31:                              ;   in Loop: Header=BB26_27 Depth=2
	s_or_b32 exec_lo, exec_lo, s25
	s_mov_b32 s25, exec_lo
	s_waitcnt vmcnt(0)
	v_cmpx_eq_u32_e64 v29, v28
	s_cbranch_execz .LBB26_26
; %bb.32:                               ;   in Loop: Header=BB26_27 Depth=2
	v_lshlrev_b64 v[28:29], 3, v[13:14]
	v_lshlrev_b64 v[14:15], 3, v[15:16]
	v_add_co_u32 v28, vcc_lo, s8, v28
	v_add_co_ci_u32_e64 v29, null, s9, v29, vcc_lo
	v_add_co_u32 v14, vcc_lo, s8, v14
	v_add_co_ci_u32_e64 v15, null, s9, v15, vcc_lo
	s_clause 0x1
	global_load_dwordx2 v[28:29], v[28:29], off
	global_load_dwordx2 v[14:15], v[14:15], off
	s_waitcnt vmcnt(0)
	v_fmac_f32_e32 v26, v28, v14
	v_fmac_f32_e32 v25, v29, v14
	;; [unrolled: 1-line block ×3, first 2 shown]
	v_fma_f32 v25, v28, -v15, v25
	s_branch .LBB26_26
.LBB26_33:                              ;   in Loop: Header=BB26_5 Depth=1
	s_or_b32 exec_lo, exec_lo, s24
.LBB26_34:                              ;   in Loop: Header=BB26_5 Depth=1
	s_or_b32 exec_lo, exec_lo, s23
	v_or_b32_e32 v12, 32, v23
	v_xor_b32_e32 v14, 16, v23
	v_xor_b32_e32 v16, 8, v23
	v_cmp_gt_i32_e32 vcc_lo, 32, v12
	v_cndmask_b32_e32 v12, v23, v12, vcc_lo
	v_cmp_gt_i32_e32 vcc_lo, 32, v14
	v_lshlrev_b32_e32 v12, 2, v12
	v_cndmask_b32_e32 v14, v23, v14, vcc_lo
	v_cmp_gt_i32_e32 vcc_lo, 32, v16
	ds_bpermute_b32 v13, v12, v26
	ds_bpermute_b32 v12, v12, v25
	v_lshlrev_b32_e32 v14, 2, v14
	v_cndmask_b32_e32 v16, v23, v16, vcc_lo
	v_lshlrev_b32_e32 v16, 2, v16
	s_waitcnt lgkmcnt(1)
	v_add_f32_e32 v13, v26, v13
	s_waitcnt lgkmcnt(0)
	v_add_f32_e32 v12, v25, v12
	ds_bpermute_b32 v15, v14, v13
	ds_bpermute_b32 v14, v14, v12
	s_waitcnt lgkmcnt(1)
	v_add_f32_e32 v13, v13, v15
	s_waitcnt lgkmcnt(0)
	v_add_f32_e32 v12, v12, v14
	ds_bpermute_b32 v14, v16, v13
	ds_bpermute_b32 v15, v16, v12
	v_xor_b32_e32 v16, 4, v23
	v_cmp_gt_i32_e32 vcc_lo, 32, v16
	v_cndmask_b32_e32 v16, v23, v16, vcc_lo
	v_lshlrev_b32_e32 v16, 2, v16
	s_waitcnt lgkmcnt(1)
	v_add_f32_e32 v13, v13, v14
	s_waitcnt lgkmcnt(0)
	v_add_f32_e32 v12, v12, v15
	ds_bpermute_b32 v14, v16, v13
	ds_bpermute_b32 v15, v16, v12
	v_xor_b32_e32 v16, 2, v23
	v_cmp_gt_i32_e32 vcc_lo, 32, v16
	v_cndmask_b32_e32 v16, v23, v16, vcc_lo
	v_lshlrev_b32_e32 v16, 2, v16
	;; [unrolled: 10-line block ×3, first 2 shown]
	s_waitcnt lgkmcnt(1)
	v_add_f32_e32 v12, v13, v12
	s_waitcnt lgkmcnt(0)
	v_add_f32_e32 v14, v14, v15
	ds_bpermute_b32 v13, v16, v12
	ds_bpermute_b32 v15, v16, v14
	s_and_saveexec_b32 s23, s1
	s_cbranch_execz .LBB26_3
; %bb.35:                               ;   in Loop: Header=BB26_5 Depth=1
	v_mul_f32_e32 v16, v11, v11
	s_waitcnt lgkmcnt(0)
	v_add_f32_e32 v14, v14, v15
	v_add_f32_e32 v12, v12, v13
	v_fmac_f32_e32 v16, v10, v10
	v_sub_f32_e32 v12, v8, v12
	v_div_scale_f32 v25, null, v16, v16, 1.0
	v_div_scale_f32 v28, vcc_lo, 1.0, v16, 1.0
	v_rcp_f32_e32 v26, v25
	v_fma_f32 v27, -v25, v26, 1.0
	v_fmac_f32_e32 v26, v27, v26
	v_mul_f32_e32 v27, v28, v26
	v_fma_f32 v29, -v25, v27, v28
	v_fmac_f32_e32 v27, v29, v26
	v_fma_f32 v25, -v25, v27, v28
	v_div_fmas_f32 v25, v25, v26, v27
	v_fma_f32 v26, v10, 0, -v11
	v_fma_f32 v10, 0, v11, v10
	v_sub_f32_e32 v11, v9, v14
	v_div_fixup_f32 v15, v25, v16, 1.0
	v_mul_f32_e32 v9, v26, v15
	v_mul_f32_e32 v10, v10, v15
	v_mul_f32_e64 v8, v9, -v11
	v_mul_f32_e32 v9, v9, v12
	v_fmac_f32_e32 v8, v12, v10
	v_fmac_f32_e32 v9, v11, v10
	;; [unrolled: 1-line block ×4, first 2 shown]
	global_store_dwordx2 v[6:7], v[8:9], off
	v_fmac_f32_e32 v18, v9, v9
	v_fma_f32 v0, v8, -v9, v0
	s_branch .LBB26_3
.LBB26_36:
	s_or_b32 exec_lo, exec_lo, s22
.LBB26_37:
	s_or_b32 exec_lo, exec_lo, s21
	v_cmp_eq_u32_e64 s0, 63, v17
	v_cmp_lt_i32_e32 vcc_lo, -1, v4
	s_and_b32 s1, s0, vcc_lo
	s_and_saveexec_b32 s3, s1
	s_cbranch_execz .LBB26_54
; %bb.38:
	v_mov_b32_e32 v5, 0
	v_mul_f64 v[8:9], s[6:7], s[6:7]
	v_lshlrev_b64 v[4:5], 3, v[4:5]
	v_add_co_u32 v4, vcc_lo, s8, v4
	v_add_co_ci_u32_e64 v5, null, s9, v5, vcc_lo
	global_load_dwordx2 v[6:7], v[4:5], off
	s_waitcnt vmcnt(0)
	v_sub_f32_e32 v6, v6, v18
	v_sub_f32_e32 v7, v7, v0
	v_cvt_f64_f32_e32 v[10:11], v6
	v_cmp_eq_f32_e64 s2, 0, v7
	v_cmp_neq_f32_e32 vcc_lo, 0, v7
	v_cmp_ge_f64_e64 s1, v[8:9], v[10:11]
	s_and_b32 s1, s2, s1
	s_and_saveexec_b32 s2, s1
	s_cbranch_execz .LBB26_43
; %bb.39:
	v_add_nc_u32_e32 v0, s20, v3
	s_mov_b32 s1, exec_lo
	s_brev_b32 s4, -2
.LBB26_40:                              ; =>This Inner Loop Header: Depth=1
	s_ff1_i32_b32 s5, s1
	v_readlane_b32 s6, v0, s5
	s_lshl_b32 s5, 1, s5
	s_andn2_b32 s1, s1, s5
	s_min_i32 s4, s4, s6
	s_cmp_lg_u32 s1, 0
	s_cbranch_scc1 .LBB26_40
; %bb.41:
	v_mbcnt_lo_u32_b32 v0, exec_lo, 0
	s_mov_b32 s5, exec_lo
	v_cmpx_eq_u32_e32 0, v0
	s_xor_b32 s5, exec_lo, s5
	s_cbranch_execz .LBB26_43
; %bb.42:
	v_mov_b32_e32 v0, 0
	v_mov_b32_e32 v8, s4
	global_atomic_smin v0, v8, s[18:19]
.LBB26_43:
	s_or_b32 exec_lo, exec_lo, s2
	v_cmp_gt_f32_e64 s1, 0, v6
	s_mov_b32 s2, exec_lo
	v_cndmask_b32_e64 v0, v6, -v6, s1
	v_cmp_gt_f32_e64 s1, 0, v7
	v_cndmask_b32_e64 v6, v7, -v7, s1
                                        ; implicit-def: $vgpr7
	v_cmpx_ngt_f32_e32 v0, v6
	s_xor_b32 s2, exec_lo, s2
	s_cbranch_execz .LBB26_47
; %bb.44:
	v_mov_b32_e32 v7, 0
	s_and_saveexec_b32 s4, vcc_lo
	s_cbranch_execz .LBB26_46
; %bb.45:
	v_div_scale_f32 v7, null, v6, v6, v0
	v_div_scale_f32 v10, vcc_lo, v0, v6, v0
	v_rcp_f32_e32 v8, v7
	v_fma_f32 v9, -v7, v8, 1.0
	v_fmac_f32_e32 v8, v9, v8
	v_mul_f32_e32 v9, v10, v8
	v_fma_f32 v11, -v7, v9, v10
	v_fmac_f32_e32 v9, v11, v8
	v_fma_f32 v7, -v7, v9, v10
	v_div_fmas_f32 v7, v7, v8, v9
	v_div_fixup_f32 v0, v7, v6, v0
	v_fma_f32 v0, v0, v0, 1.0
	v_mul_f32_e32 v7, 0x4f800000, v0
	v_cmp_gt_f32_e32 vcc_lo, 0xf800000, v0
	v_cndmask_b32_e32 v0, v0, v7, vcc_lo
	v_sqrt_f32_e32 v7, v0
	v_add_nc_u32_e32 v8, -1, v7
	v_add_nc_u32_e32 v9, 1, v7
	v_fma_f32 v10, -v8, v7, v0
	v_fma_f32 v11, -v9, v7, v0
	v_cmp_ge_f32_e64 s1, 0, v10
	v_cndmask_b32_e64 v7, v7, v8, s1
	v_cmp_lt_f32_e64 s1, 0, v11
	v_cndmask_b32_e64 v7, v7, v9, s1
	v_mul_f32_e32 v8, 0x37800000, v7
	v_cndmask_b32_e32 v7, v7, v8, vcc_lo
	v_cmp_class_f32_e64 vcc_lo, v0, 0x260
	v_cndmask_b32_e32 v0, v7, v0, vcc_lo
	v_mul_f32_e32 v7, v6, v0
.LBB26_46:
	s_or_b32 exec_lo, exec_lo, s4
                                        ; implicit-def: $vgpr0
                                        ; implicit-def: $vgpr6
.LBB26_47:
	s_andn2_saveexec_b32 s2, s2
	s_cbranch_execz .LBB26_49
; %bb.48:
	v_div_scale_f32 v7, null, v0, v0, v6
	v_div_scale_f32 v10, vcc_lo, v6, v0, v6
	v_rcp_f32_e32 v8, v7
	v_fma_f32 v9, -v7, v8, 1.0
	v_fmac_f32_e32 v8, v9, v8
	v_mul_f32_e32 v9, v10, v8
	v_fma_f32 v11, -v7, v9, v10
	v_fmac_f32_e32 v9, v11, v8
	v_fma_f32 v7, -v7, v9, v10
	v_div_fmas_f32 v7, v7, v8, v9
	v_div_fixup_f32 v6, v7, v0, v6
	v_fma_f32 v6, v6, v6, 1.0
	v_mul_f32_e32 v7, 0x4f800000, v6
	v_cmp_gt_f32_e32 vcc_lo, 0xf800000, v6
	v_cndmask_b32_e32 v6, v6, v7, vcc_lo
	v_sqrt_f32_e32 v7, v6
	v_add_nc_u32_e32 v8, -1, v7
	v_add_nc_u32_e32 v9, 1, v7
	v_fma_f32 v10, -v8, v7, v6
	v_fma_f32 v11, -v9, v7, v6
	v_cmp_ge_f32_e64 s1, 0, v10
	v_cndmask_b32_e64 v7, v7, v8, s1
	v_cmp_lt_f32_e64 s1, 0, v11
	v_cndmask_b32_e64 v7, v7, v9, s1
	v_mul_f32_e32 v8, 0x37800000, v7
	v_cndmask_b32_e32 v7, v7, v8, vcc_lo
	v_cmp_class_f32_e64 vcc_lo, v6, 0x260
	v_cndmask_b32_e32 v6, v7, v6, vcc_lo
	v_mul_f32_e32 v7, v0, v6
.LBB26_49:
	s_or_b32 exec_lo, exec_lo, s2
	v_mul_f32_e32 v0, 0x4f800000, v7
	v_cmp_gt_f32_e32 vcc_lo, 0xf800000, v7
	v_cndmask_b32_e32 v0, v7, v0, vcc_lo
	v_sqrt_f32_e32 v6, v0
	v_add_nc_u32_e32 v8, -1, v6
	v_add_nc_u32_e32 v9, 1, v6
	v_fma_f32 v10, -v8, v6, v0
	v_fma_f32 v11, -v9, v6, v0
	v_cmp_ge_f32_e64 s1, 0, v10
	v_cndmask_b32_e64 v6, v6, v8, s1
	v_cmp_lt_f32_e64 s1, 0, v11
	v_cndmask_b32_e64 v6, v6, v9, s1
	v_mov_b32_e32 v9, 0
	v_mul_f32_e32 v8, 0x37800000, v6
	v_cndmask_b32_e32 v6, v6, v8, vcc_lo
	v_cmp_class_f32_e64 vcc_lo, v0, 0x260
	v_cndmask_b32_e32 v8, v6, v0, vcc_lo
	v_cmp_eq_f32_e32 vcc_lo, 0, v7
	global_store_dwordx2 v[4:5], v[8:9], off
	s_and_b32 exec_lo, exec_lo, vcc_lo
	s_cbranch_execz .LBB26_54
; %bb.50:
	v_add_nc_u32_e32 v0, s20, v3
	s_mov_b32 s2, exec_lo
	s_brev_b32 s1, -2
.LBB26_51:                              ; =>This Inner Loop Header: Depth=1
	s_ff1_i32_b32 s4, s2
	v_readlane_b32 s5, v0, s4
	s_lshl_b32 s4, 1, s4
	s_andn2_b32 s2, s2, s4
	s_min_i32 s1, s1, s5
	s_cmp_lg_u32 s2, 0
	s_cbranch_scc1 .LBB26_51
; %bb.52:
	v_mbcnt_lo_u32_b32 v0, exec_lo, 0
	s_mov_b32 s2, exec_lo
	v_cmpx_eq_u32_e32 0, v0
	s_xor_b32 s2, exec_lo, s2
	s_cbranch_execz .LBB26_54
; %bb.53:
	v_mov_b32_e32 v0, 0
	v_mov_b32_e32 v3, s1
	global_atomic_smin v0, v3, s[16:17]
.LBB26_54:
	s_or_b32 exec_lo, exec_lo, s3
	s_and_b32 exec_lo, exec_lo, s0
	s_cbranch_execz .LBB26_56
; %bb.55:
	v_add_co_u32 v0, vcc_lo, s12, v1
	v_add_co_ci_u32_e64 v1, null, s13, v2, vcc_lo
	v_mov_b32_e32 v2, 1
	s_waitcnt lgkmcnt(0)
	s_waitcnt_vscnt null, 0x0
	global_store_dword v[0:1], v2, off
.LBB26_56:
	s_endpgm
	.section	.rodata,"a",@progbits
	.p2align	6, 0x0
	.amdhsa_kernel _ZN9rocsparseL23csric0_binsearch_kernelILj256ELj64ELb1E21rocsparse_complex_numIfEEEviPKiS4_PT2_S4_PiS4_S7_S7_d21rocsparse_index_base_
		.amdhsa_group_segment_fixed_size 0
		.amdhsa_private_segment_fixed_size 0
		.amdhsa_kernarg_size 84
		.amdhsa_user_sgpr_count 6
		.amdhsa_user_sgpr_private_segment_buffer 1
		.amdhsa_user_sgpr_dispatch_ptr 0
		.amdhsa_user_sgpr_queue_ptr 0
		.amdhsa_user_sgpr_kernarg_segment_ptr 1
		.amdhsa_user_sgpr_dispatch_id 0
		.amdhsa_user_sgpr_flat_scratch_init 0
		.amdhsa_user_sgpr_private_segment_size 0
		.amdhsa_wavefront_size32 1
		.amdhsa_uses_dynamic_stack 0
		.amdhsa_system_sgpr_private_segment_wavefront_offset 0
		.amdhsa_system_sgpr_workgroup_id_x 1
		.amdhsa_system_sgpr_workgroup_id_y 0
		.amdhsa_system_sgpr_workgroup_id_z 0
		.amdhsa_system_sgpr_workgroup_info 0
		.amdhsa_system_vgpr_workitem_id 0
		.amdhsa_next_free_vgpr 33
		.amdhsa_next_free_sgpr 28
		.amdhsa_reserve_vcc 1
		.amdhsa_reserve_flat_scratch 0
		.amdhsa_float_round_mode_32 0
		.amdhsa_float_round_mode_16_64 0
		.amdhsa_float_denorm_mode_32 3
		.amdhsa_float_denorm_mode_16_64 3
		.amdhsa_dx10_clamp 1
		.amdhsa_ieee_mode 1
		.amdhsa_fp16_overflow 0
		.amdhsa_workgroup_processor_mode 1
		.amdhsa_memory_ordered 1
		.amdhsa_forward_progress 1
		.amdhsa_shared_vgpr_count 0
		.amdhsa_exception_fp_ieee_invalid_op 0
		.amdhsa_exception_fp_denorm_src 0
		.amdhsa_exception_fp_ieee_div_zero 0
		.amdhsa_exception_fp_ieee_overflow 0
		.amdhsa_exception_fp_ieee_underflow 0
		.amdhsa_exception_fp_ieee_inexact 0
		.amdhsa_exception_int_div_zero 0
	.end_amdhsa_kernel
	.section	.text._ZN9rocsparseL23csric0_binsearch_kernelILj256ELj64ELb1E21rocsparse_complex_numIfEEEviPKiS4_PT2_S4_PiS4_S7_S7_d21rocsparse_index_base_,"axG",@progbits,_ZN9rocsparseL23csric0_binsearch_kernelILj256ELj64ELb1E21rocsparse_complex_numIfEEEviPKiS4_PT2_S4_PiS4_S7_S7_d21rocsparse_index_base_,comdat
.Lfunc_end26:
	.size	_ZN9rocsparseL23csric0_binsearch_kernelILj256ELj64ELb1E21rocsparse_complex_numIfEEEviPKiS4_PT2_S4_PiS4_S7_S7_d21rocsparse_index_base_, .Lfunc_end26-_ZN9rocsparseL23csric0_binsearch_kernelILj256ELj64ELb1E21rocsparse_complex_numIfEEEviPKiS4_PT2_S4_PiS4_S7_S7_d21rocsparse_index_base_
                                        ; -- End function
	.set _ZN9rocsparseL23csric0_binsearch_kernelILj256ELj64ELb1E21rocsparse_complex_numIfEEEviPKiS4_PT2_S4_PiS4_S7_S7_d21rocsparse_index_base_.num_vgpr, 33
	.set _ZN9rocsparseL23csric0_binsearch_kernelILj256ELj64ELb1E21rocsparse_complex_numIfEEEviPKiS4_PT2_S4_PiS4_S7_S7_d21rocsparse_index_base_.num_agpr, 0
	.set _ZN9rocsparseL23csric0_binsearch_kernelILj256ELj64ELb1E21rocsparse_complex_numIfEEEviPKiS4_PT2_S4_PiS4_S7_S7_d21rocsparse_index_base_.numbered_sgpr, 28
	.set _ZN9rocsparseL23csric0_binsearch_kernelILj256ELj64ELb1E21rocsparse_complex_numIfEEEviPKiS4_PT2_S4_PiS4_S7_S7_d21rocsparse_index_base_.num_named_barrier, 0
	.set _ZN9rocsparseL23csric0_binsearch_kernelILj256ELj64ELb1E21rocsparse_complex_numIfEEEviPKiS4_PT2_S4_PiS4_S7_S7_d21rocsparse_index_base_.private_seg_size, 0
	.set _ZN9rocsparseL23csric0_binsearch_kernelILj256ELj64ELb1E21rocsparse_complex_numIfEEEviPKiS4_PT2_S4_PiS4_S7_S7_d21rocsparse_index_base_.uses_vcc, 1
	.set _ZN9rocsparseL23csric0_binsearch_kernelILj256ELj64ELb1E21rocsparse_complex_numIfEEEviPKiS4_PT2_S4_PiS4_S7_S7_d21rocsparse_index_base_.uses_flat_scratch, 0
	.set _ZN9rocsparseL23csric0_binsearch_kernelILj256ELj64ELb1E21rocsparse_complex_numIfEEEviPKiS4_PT2_S4_PiS4_S7_S7_d21rocsparse_index_base_.has_dyn_sized_stack, 0
	.set _ZN9rocsparseL23csric0_binsearch_kernelILj256ELj64ELb1E21rocsparse_complex_numIfEEEviPKiS4_PT2_S4_PiS4_S7_S7_d21rocsparse_index_base_.has_recursion, 0
	.set _ZN9rocsparseL23csric0_binsearch_kernelILj256ELj64ELb1E21rocsparse_complex_numIfEEEviPKiS4_PT2_S4_PiS4_S7_S7_d21rocsparse_index_base_.has_indirect_call, 0
	.section	.AMDGPU.csdata,"",@progbits
; Kernel info:
; codeLenInByte = 2760
; TotalNumSgprs: 30
; NumVgprs: 33
; ScratchSize: 0
; MemoryBound: 0
; FloatMode: 240
; IeeeMode: 1
; LDSByteSize: 0 bytes/workgroup (compile time only)
; SGPRBlocks: 0
; VGPRBlocks: 4
; NumSGPRsForWavesPerEU: 30
; NumVGPRsForWavesPerEU: 33
; Occupancy: 16
; WaveLimiterHint : 1
; COMPUTE_PGM_RSRC2:SCRATCH_EN: 0
; COMPUTE_PGM_RSRC2:USER_SGPR: 6
; COMPUTE_PGM_RSRC2:TRAP_HANDLER: 0
; COMPUTE_PGM_RSRC2:TGID_X_EN: 1
; COMPUTE_PGM_RSRC2:TGID_Y_EN: 0
; COMPUTE_PGM_RSRC2:TGID_Z_EN: 0
; COMPUTE_PGM_RSRC2:TIDIG_COMP_CNT: 0
	.section	.text._ZN9rocsparseL18csric0_hash_kernelILj256ELj32ELj1E21rocsparse_complex_numIfEEEviPKiS4_PT2_S4_PiS4_S7_S7_d21rocsparse_index_base_,"axG",@progbits,_ZN9rocsparseL18csric0_hash_kernelILj256ELj32ELj1E21rocsparse_complex_numIfEEEviPKiS4_PT2_S4_PiS4_S7_S7_d21rocsparse_index_base_,comdat
	.globl	_ZN9rocsparseL18csric0_hash_kernelILj256ELj32ELj1E21rocsparse_complex_numIfEEEviPKiS4_PT2_S4_PiS4_S7_S7_d21rocsparse_index_base_ ; -- Begin function _ZN9rocsparseL18csric0_hash_kernelILj256ELj32ELj1E21rocsparse_complex_numIfEEEviPKiS4_PT2_S4_PiS4_S7_S7_d21rocsparse_index_base_
	.p2align	8
	.type	_ZN9rocsparseL18csric0_hash_kernelILj256ELj32ELj1E21rocsparse_complex_numIfEEEviPKiS4_PT2_S4_PiS4_S7_S7_d21rocsparse_index_base_,@function
_ZN9rocsparseL18csric0_hash_kernelILj256ELj32ELj1E21rocsparse_complex_numIfEEEviPKiS4_PT2_S4_PiS4_S7_S7_d21rocsparse_index_base_: ; @_ZN9rocsparseL18csric0_hash_kernelILj256ELj32ELj1E21rocsparse_complex_numIfEEEviPKiS4_PT2_S4_PiS4_S7_S7_d21rocsparse_index_base_
; %bb.0:
	s_load_dword s0, s[4:5], 0x0
	v_and_b32_e32 v6, 0xe0, v0
	v_lshrrev_b32_e32 v1, 5, v0
	s_lshl_b32 s1, s6, 3
	v_and_b32_e32 v14, 31, v0
	v_mov_b32_e32 v2, -1
	v_lshl_or_b32 v15, v6, 2, 0x400
	v_and_or_b32 v0, 0x7fffff8, s1, v1
	v_lshl_or_b32 v1, v14, 2, v15
	ds_write_b32 v1, v2
	s_waitcnt lgkmcnt(0)
	buffer_gl0_inv
	v_cmp_gt_i32_e32 vcc_lo, s0, v0
	s_and_saveexec_b32 s0, vcc_lo
	s_cbranch_execz .LBB27_52
; %bb.1:
	s_load_dwordx8 s[8:15], s[4:5], 0x28
	v_lshlrev_b32_e32 v0, 2, v0
	s_clause 0x1
	s_load_dwordx8 s[16:23], s[4:5], 0x8
	s_load_dword s2, s[4:5], 0x50
	v_lshlrev_b32_e32 v16, 2, v6
	s_mov_b32 s0, exec_lo
	s_waitcnt lgkmcnt(0)
	global_load_dword v2, v0, s[10:11]
	s_waitcnt vmcnt(0)
	v_ashrrev_i32_e32 v3, 31, v2
	v_lshlrev_b64 v[0:1], 2, v[2:3]
	v_add_co_u32 v3, vcc_lo, s16, v0
	v_add_co_ci_u32_e64 v4, null, s17, v1, vcc_lo
	v_add_co_u32 v7, vcc_lo, s22, v0
	v_add_co_ci_u32_e64 v8, null, s23, v1, vcc_lo
	global_load_dwordx2 v[4:5], v[3:4], off
	global_load_dword v3, v[7:8], off
	s_waitcnt vmcnt(1)
	v_subrev_nc_u32_e32 v4, s2, v4
	v_subrev_nc_u32_e32 v7, s2, v5
	v_add_nc_u32_e32 v5, v4, v14
	v_cmpx_lt_i32_e64 v5, v7
	s_cbranch_execz .LBB27_11
; %bb.2:
	v_mov_b32_e32 v8, -1
	s_mov_b32 s1, 0
	s_branch .LBB27_4
.LBB27_3:                               ;   in Loop: Header=BB27_4 Depth=1
	s_or_b32 exec_lo, exec_lo, s3
	v_add_nc_u32_e32 v5, 32, v5
	v_cmp_ge_i32_e32 vcc_lo, v5, v7
	s_or_b32 s1, vcc_lo, s1
	s_andn2_b32 exec_lo, exec_lo, s1
	s_cbranch_execz .LBB27_11
.LBB27_4:                               ; =>This Loop Header: Depth=1
                                        ;     Child Loop BB27_7 Depth 2
	v_ashrrev_i32_e32 v6, 31, v5
	s_mov_b32 s3, exec_lo
	v_lshlrev_b64 v[9:10], 2, v[5:6]
	v_add_co_u32 v9, vcc_lo, s18, v9
	v_add_co_ci_u32_e64 v10, null, s19, v10, vcc_lo
	global_load_dword v6, v[9:10], off
	s_waitcnt vmcnt(0)
	v_mul_lo_u32 v9, v6, 7
	v_and_b32_e32 v9, 31, v9
	v_lshl_add_u32 v10, v9, 2, v15
	ds_read_b32 v11, v10
	s_waitcnt lgkmcnt(0)
	v_cmpx_ne_u32_e64 v11, v6
	s_cbranch_execz .LBB27_3
; %bb.5:                                ;   in Loop: Header=BB27_4 Depth=1
	s_mov_b32 s6, 0
                                        ; implicit-def: $sgpr7
                                        ; implicit-def: $sgpr11
                                        ; implicit-def: $sgpr10
	s_inst_prefetch 0x1
	s_branch .LBB27_7
	.p2align	6
.LBB27_6:                               ;   in Loop: Header=BB27_7 Depth=2
	s_or_b32 exec_lo, exec_lo, s24
	s_and_b32 s24, exec_lo, s11
	s_or_b32 s6, s24, s6
	s_andn2_b32 s7, s7, exec_lo
	s_and_b32 s24, s10, exec_lo
	s_or_b32 s7, s7, s24
	s_andn2_b32 exec_lo, exec_lo, s6
	s_cbranch_execz .LBB27_9
.LBB27_7:                               ;   Parent Loop BB27_4 Depth=1
                                        ; =>  This Inner Loop Header: Depth=2
	ds_cmpst_rtn_b32 v10, v10, v8, v6
	v_mov_b32_e32 v11, v9
	s_or_b32 s10, s10, exec_lo
	s_or_b32 s11, s11, exec_lo
                                        ; implicit-def: $vgpr9
	s_waitcnt lgkmcnt(0)
	v_cmp_ne_u32_e32 vcc_lo, -1, v10
                                        ; implicit-def: $vgpr10
	s_and_saveexec_b32 s24, vcc_lo
	s_cbranch_execz .LBB27_6
; %bb.8:                                ;   in Loop: Header=BB27_7 Depth=2
	v_add_nc_u32_e32 v9, 1, v11
	s_andn2_b32 s11, s11, exec_lo
	s_andn2_b32 s10, s10, exec_lo
	v_and_b32_e32 v9, 31, v9
	v_lshl_add_u32 v10, v9, 2, v15
	ds_read_b32 v12, v10
	s_waitcnt lgkmcnt(0)
	v_cmp_eq_u32_e32 vcc_lo, v12, v6
	s_and_b32 s25, vcc_lo, exec_lo
	s_or_b32 s11, s11, s25
	s_branch .LBB27_6
.LBB27_9:                               ;   in Loop: Header=BB27_4 Depth=1
	s_inst_prefetch 0x2
	s_or_b32 exec_lo, exec_lo, s6
	s_and_saveexec_b32 s6, s7
	s_xor_b32 s6, exec_lo, s6
	s_cbranch_execz .LBB27_3
; %bb.10:                               ;   in Loop: Header=BB27_4 Depth=1
	v_lshl_add_u32 v6, v11, 2, v16
	ds_write_b32 v6, v5
	s_branch .LBB27_3
.LBB27_11:
	s_or_b32 exec_lo, exec_lo, s0
	v_mov_b32_e32 v17, 0
	v_mov_b32_e32 v18, 0
	s_mov_b32 s3, exec_lo
	s_waitcnt vmcnt(0) lgkmcnt(0)
	buffer_gl0_inv
	v_cmpx_lt_i32_e64 v4, v3
	s_cbranch_execz .LBB27_33
; %bb.12:
	v_add_nc_u32_e32 v19, -1, v3
	v_subrev_nc_u32_e32 v20, s2, v14
	v_cmp_eq_u32_e64 s0, 31, v14
	v_mov_b32_e32 v17, 0
	v_mbcnt_lo_u32_b32 v21, -1, 0
	v_mov_b32_e32 v18, 0
	s_mov_b32 s6, 0
	s_branch .LBB27_15
.LBB27_13:                              ;   in Loop: Header=BB27_15 Depth=1
	s_or_b32 exec_lo, exec_lo, s7
	v_add_nc_u32_e32 v4, 1, v4
	v_cmp_ge_i32_e32 vcc_lo, v4, v3
	s_orn2_b32 s7, vcc_lo, exec_lo
.LBB27_14:                              ;   in Loop: Header=BB27_15 Depth=1
	s_or_b32 exec_lo, exec_lo, s1
	s_and_b32 s1, exec_lo, s7
	s_or_b32 s6, s1, s6
	s_andn2_b32 exec_lo, exec_lo, s6
	s_cbranch_execz .LBB27_32
.LBB27_15:                              ; =>This Loop Header: Depth=1
                                        ;     Child Loop BB27_16 Depth 2
                                        ;     Child Loop BB27_22 Depth 2
                                        ;       Child Loop BB27_25 Depth 3
	v_ashrrev_i32_e32 v5, 31, v4
	s_mov_b32 s1, 0
	v_lshlrev_b64 v[6:7], 2, v[4:5]
	v_lshlrev_b64 v[8:9], 3, v[4:5]
	v_add_co_u32 v6, vcc_lo, s18, v6
	v_add_co_ci_u32_e64 v7, null, s19, v7, vcc_lo
	v_add_co_u32 v5, vcc_lo, s20, v8
	global_load_dword v6, v[6:7], off
	s_waitcnt vmcnt(0)
	v_subrev_nc_u32_e32 v6, s2, v6
	v_ashrrev_i32_e32 v7, 31, v6
	s_waitcnt lgkmcnt(0)
	v_lshlrev_b64 v[22:23], 2, v[6:7]
	v_add_co_ci_u32_e64 v6, null, s21, v9, vcc_lo
	v_add_co_u32 v9, vcc_lo, s16, v22
	v_add_co_ci_u32_e64 v10, null, s17, v23, vcc_lo
	v_add_co_u32 v11, vcc_lo, s22, v22
	v_add_co_ci_u32_e64 v12, null, s23, v23, vcc_lo
	global_load_dwordx2 v[7:8], v[5:6], off
	global_load_dword v13, v[9:10], off
	global_load_dword v11, v[11:12], off
	v_add_co_u32 v9, vcc_lo, s8, v22
	v_add_co_ci_u32_e64 v10, null, s9, v23, vcc_lo
.LBB27_16:                              ;   Parent Loop BB27_15 Depth=1
                                        ; =>  This Inner Loop Header: Depth=2
	global_load_dword v12, v[9:10], off glc dlc
	s_waitcnt vmcnt(0)
	v_cmp_ne_u32_e32 vcc_lo, 0, v12
	s_or_b32 s1, vcc_lo, s1
	s_andn2_b32 exec_lo, exec_lo, s1
	s_cbranch_execnz .LBB27_16
; %bb.17:                               ;   in Loop: Header=BB27_15 Depth=1
	s_or_b32 exec_lo, exec_lo, s1
	v_cmp_eq_u32_e32 vcc_lo, -1, v11
	buffer_gl1_inv
	buffer_gl0_inv
	s_mov_b32 s7, -1
	v_cndmask_b32_e32 v11, v11, v19, vcc_lo
	v_ashrrev_i32_e32 v12, 31, v11
	v_lshlrev_b64 v[9:10], 3, v[11:12]
	v_add_co_u32 v9, vcc_lo, s20, v9
	v_add_co_ci_u32_e64 v10, null, s21, v10, vcc_lo
	global_load_dwordx2 v[9:10], v[9:10], off
	s_waitcnt vmcnt(0)
	v_cmp_neq_f32_e32 vcc_lo, 0, v9
	v_cmp_neq_f32_e64 s1, 0, v10
	s_or_b32 s10, vcc_lo, s1
	s_and_saveexec_b32 s1, s10
	s_cbranch_execz .LBB27_14
; %bb.18:                               ;   in Loop: Header=BB27_15 Depth=1
	v_add_nc_u32_e32 v12, v20, v13
	v_mov_b32_e32 v22, 0
	v_mov_b32_e32 v23, 0
	s_mov_b32 s7, exec_lo
	v_cmpx_lt_i32_e64 v12, v11
	s_cbranch_execz .LBB27_30
; %bb.19:                               ;   in Loop: Header=BB27_15 Depth=1
	v_mov_b32_e32 v22, 0
	v_mov_b32_e32 v23, 0
	s_mov_b32 s10, 0
	s_branch .LBB27_22
.LBB27_20:                              ;   in Loop: Header=BB27_22 Depth=2
	s_or_b32 exec_lo, exec_lo, s24
.LBB27_21:                              ;   in Loop: Header=BB27_22 Depth=2
	s_or_b32 exec_lo, exec_lo, s11
	v_add_nc_u32_e32 v12, 32, v12
	v_cmp_ge_i32_e32 vcc_lo, v12, v11
	s_or_b32 s10, vcc_lo, s10
	s_andn2_b32 exec_lo, exec_lo, s10
	s_cbranch_execz .LBB27_29
.LBB27_22:                              ;   Parent Loop BB27_15 Depth=1
                                        ; =>  This Loop Header: Depth=2
                                        ;       Child Loop BB27_25 Depth 3
	v_ashrrev_i32_e32 v13, 31, v12
	s_mov_b32 s11, exec_lo
	v_lshlrev_b64 v[24:25], 2, v[12:13]
	v_add_co_u32 v24, vcc_lo, s18, v24
	v_add_co_ci_u32_e64 v25, null, s19, v25, vcc_lo
	global_load_dword v24, v[24:25], off
	s_waitcnt vmcnt(0)
	v_mul_lo_u32 v25, v24, 7
	v_and_b32_e32 v27, 31, v25
	v_lshl_add_u32 v25, v27, 2, v15
	ds_read_b32 v26, v25
	s_waitcnt lgkmcnt(0)
	v_cmpx_ne_u32_e32 -1, v26
	s_cbranch_execz .LBB27_21
; %bb.23:                               ;   in Loop: Header=BB27_22 Depth=2
	s_mov_b32 s25, 0
                                        ; implicit-def: $sgpr24
                                        ; implicit-def: $sgpr27
                                        ; implicit-def: $sgpr26
	s_inst_prefetch 0x1
	s_branch .LBB27_25
	.p2align	6
.LBB27_24:                              ;   in Loop: Header=BB27_25 Depth=3
	s_or_b32 exec_lo, exec_lo, s28
	s_and_b32 s28, exec_lo, s27
	s_or_b32 s25, s28, s25
	s_andn2_b32 s24, s24, exec_lo
	s_and_b32 s28, s26, exec_lo
	s_or_b32 s24, s24, s28
	s_andn2_b32 exec_lo, exec_lo, s25
	s_cbranch_execz .LBB27_27
.LBB27_25:                              ;   Parent Loop BB27_15 Depth=1
                                        ;     Parent Loop BB27_22 Depth=2
                                        ; =>    This Inner Loop Header: Depth=3
	v_mov_b32_e32 v25, v27
	v_cmp_ne_u32_e32 vcc_lo, v26, v24
	s_or_b32 s26, s26, exec_lo
	s_or_b32 s27, s27, exec_lo
                                        ; implicit-def: $vgpr27
                                        ; implicit-def: $vgpr26
	s_and_saveexec_b32 s28, vcc_lo
	s_cbranch_execz .LBB27_24
; %bb.26:                               ;   in Loop: Header=BB27_25 Depth=3
	v_add_nc_u32_e32 v26, 1, v25
	s_andn2_b32 s27, s27, exec_lo
	s_andn2_b32 s26, s26, exec_lo
	v_and_b32_e32 v27, 31, v26
	v_lshl_add_u32 v26, v27, 2, v15
	ds_read_b32 v26, v26
	s_waitcnt lgkmcnt(0)
	v_cmp_eq_u32_e32 vcc_lo, -1, v26
	s_and_b32 s29, vcc_lo, exec_lo
	s_or_b32 s27, s27, s29
	s_branch .LBB27_24
.LBB27_27:                              ;   in Loop: Header=BB27_22 Depth=2
	s_inst_prefetch 0x2
	s_or_b32 exec_lo, exec_lo, s25
	s_and_saveexec_b32 s25, s24
	s_xor_b32 s24, exec_lo, s25
	s_cbranch_execz .LBB27_20
; %bb.28:                               ;   in Loop: Header=BB27_22 Depth=2
	v_lshl_add_u32 v24, v25, 2, v16
	v_lshlrev_b64 v[26:27], 3, v[12:13]
	ds_read_b32 v24, v24
	v_add_co_u32 v26, vcc_lo, s20, v26
	v_add_co_ci_u32_e64 v27, null, s21, v27, vcc_lo
	s_waitcnt lgkmcnt(0)
	v_ashrrev_i32_e32 v25, 31, v24
	v_lshlrev_b64 v[24:25], 3, v[24:25]
	v_add_co_u32 v24, vcc_lo, s20, v24
	v_add_co_ci_u32_e64 v25, null, s21, v25, vcc_lo
	s_clause 0x1
	global_load_dwordx2 v[26:27], v[26:27], off
	global_load_dwordx2 v[24:25], v[24:25], off
	s_waitcnt vmcnt(0)
	v_fmac_f32_e32 v23, v26, v24
	v_fmac_f32_e32 v22, v27, v24
	;; [unrolled: 1-line block ×3, first 2 shown]
	v_fma_f32 v22, v26, -v25, v22
	s_branch .LBB27_20
.LBB27_29:                              ;   in Loop: Header=BB27_15 Depth=1
	s_or_b32 exec_lo, exec_lo, s10
.LBB27_30:                              ;   in Loop: Header=BB27_15 Depth=1
	s_or_b32 exec_lo, exec_lo, s7
	v_xor_b32_e32 v11, 16, v21
	v_xor_b32_e32 v13, 8, v21
	v_cmp_gt_i32_e32 vcc_lo, 32, v11
	v_cndmask_b32_e32 v11, v21, v11, vcc_lo
	v_cmp_gt_i32_e32 vcc_lo, 32, v13
	v_lshlrev_b32_e32 v11, 2, v11
	v_cndmask_b32_e32 v13, v21, v13, vcc_lo
	ds_bpermute_b32 v12, v11, v23
	ds_bpermute_b32 v11, v11, v22
	v_lshlrev_b32_e32 v13, 2, v13
	s_waitcnt lgkmcnt(1)
	v_add_f32_e32 v12, v23, v12
	s_waitcnt lgkmcnt(0)
	v_add_f32_e32 v11, v22, v11
	v_xor_b32_e32 v23, 4, v21
	ds_bpermute_b32 v22, v13, v12
	ds_bpermute_b32 v13, v13, v11
	v_cmp_gt_i32_e32 vcc_lo, 32, v23
	v_cndmask_b32_e32 v23, v21, v23, vcc_lo
	v_lshlrev_b32_e32 v23, 2, v23
	s_waitcnt lgkmcnt(1)
	v_add_f32_e32 v12, v12, v22
	s_waitcnt lgkmcnt(0)
	v_add_f32_e32 v11, v11, v13
	ds_bpermute_b32 v13, v23, v12
	ds_bpermute_b32 v22, v23, v11
	v_xor_b32_e32 v23, 2, v21
	v_cmp_gt_i32_e32 vcc_lo, 32, v23
	v_cndmask_b32_e32 v23, v21, v23, vcc_lo
	v_lshlrev_b32_e32 v23, 2, v23
	s_waitcnt lgkmcnt(1)
	v_add_f32_e32 v12, v12, v13
	s_waitcnt lgkmcnt(0)
	v_add_f32_e32 v13, v11, v22
	ds_bpermute_b32 v11, v23, v12
	ds_bpermute_b32 v22, v23, v13
	v_xor_b32_e32 v23, 1, v21
	v_cmp_gt_i32_e32 vcc_lo, 32, v23
	v_cndmask_b32_e32 v23, v21, v23, vcc_lo
	v_lshlrev_b32_e32 v23, 2, v23
	s_waitcnt lgkmcnt(1)
	v_add_f32_e32 v11, v12, v11
	s_waitcnt lgkmcnt(0)
	v_add_f32_e32 v13, v13, v22
	ds_bpermute_b32 v12, v23, v11
	ds_bpermute_b32 v22, v23, v13
	s_and_saveexec_b32 s7, s0
	s_cbranch_execz .LBB27_13
; %bb.31:                               ;   in Loop: Header=BB27_15 Depth=1
	v_mul_f32_e32 v23, v10, v10
	s_waitcnt lgkmcnt(0)
	v_add_f32_e32 v13, v13, v22
	v_add_f32_e32 v11, v11, v12
	v_fmac_f32_e32 v23, v9, v9
	v_sub_f32_e32 v11, v7, v11
	v_div_scale_f32 v24, null, v23, v23, 1.0
	v_div_scale_f32 v27, vcc_lo, 1.0, v23, 1.0
	v_rcp_f32_e32 v25, v24
	v_fma_f32 v26, -v24, v25, 1.0
	v_fmac_f32_e32 v25, v26, v25
	v_mul_f32_e32 v26, v27, v25
	v_fma_f32 v28, -v24, v26, v27
	v_fmac_f32_e32 v26, v28, v25
	v_fma_f32 v24, -v24, v26, v27
	v_div_fmas_f32 v24, v24, v25, v26
	v_fma_f32 v25, v9, 0, -v10
	v_fma_f32 v9, 0, v10, v9
	v_sub_f32_e32 v10, v8, v13
	v_div_fixup_f32 v22, v24, v23, 1.0
	v_mul_f32_e32 v8, v25, v22
	v_mul_f32_e32 v9, v9, v22
	v_mul_f32_e64 v7, v8, -v10
	v_mul_f32_e32 v8, v8, v11
	v_fmac_f32_e32 v7, v11, v9
	v_fmac_f32_e32 v8, v10, v9
	;; [unrolled: 1-line block ×4, first 2 shown]
	global_store_dwordx2 v[5:6], v[7:8], off
	v_fmac_f32_e32 v18, v8, v8
	v_fma_f32 v17, v7, -v8, v17
	s_branch .LBB27_13
.LBB27_32:
	s_or_b32 exec_lo, exec_lo, s6
.LBB27_33:
	s_or_b32 exec_lo, exec_lo, s3
	v_cmp_eq_u32_e64 s0, 31, v14
	v_cmp_lt_i32_e32 vcc_lo, -1, v3
	s_and_b32 s1, s0, vcc_lo
	s_and_saveexec_b32 s3, s1
	s_cbranch_execz .LBB27_50
; %bb.34:
	v_mov_b32_e32 v4, 0
	s_load_dwordx2 s[4:5], s[4:5], 0x48
	v_add_nc_u32_e32 v2, s2, v2
	v_lshlrev_b64 v[3:4], 3, v[3:4]
	v_add_co_u32 v3, vcc_lo, s20, v3
	v_add_co_ci_u32_e64 v4, null, s21, v4, vcc_lo
	global_load_dwordx2 v[5:6], v[3:4], off
	s_waitcnt lgkmcnt(0)
	v_mul_f64 v[7:8], s[4:5], s[4:5]
	s_waitcnt vmcnt(0)
	v_sub_f32_e32 v5, v5, v18
	v_cvt_f64_f32_e32 v[9:10], v5
	v_cmp_ge_f64_e32 vcc_lo, v[7:8], v[9:10]
	v_sub_f32_e32 v7, v6, v17
	v_cmp_eq_f32_e64 s1, 0, v7
	s_and_b32 s2, vcc_lo, s1
	s_and_saveexec_b32 s1, s2
	s_cbranch_execz .LBB27_39
; %bb.35:
	s_mov_b32 s4, exec_lo
	s_brev_b32 s2, -2
.LBB27_36:                              ; =>This Inner Loop Header: Depth=1
	s_ff1_i32_b32 s5, s4
	v_readlane_b32 s6, v2, s5
	s_lshl_b32 s5, 1, s5
	s_andn2_b32 s4, s4, s5
	s_min_i32 s2, s2, s6
	s_cmp_lg_u32 s4, 0
	s_cbranch_scc1 .LBB27_36
; %bb.37:
	v_mbcnt_lo_u32_b32 v6, exec_lo, 0
	s_mov_b32 s4, exec_lo
	v_cmpx_eq_u32_e32 0, v6
	s_xor_b32 s4, exec_lo, s4
	s_cbranch_execz .LBB27_39
; %bb.38:
	v_mov_b32_e32 v6, 0
	v_mov_b32_e32 v8, s2
	global_atomic_smin v6, v8, s[14:15]
.LBB27_39:
	s_or_b32 exec_lo, exec_lo, s1
	v_cmp_gt_f32_e32 vcc_lo, 0, v5
                                        ; implicit-def: $vgpr8
	s_mov_b32 s1, exec_lo
	v_cndmask_b32_e64 v5, v5, -v5, vcc_lo
	v_cmp_gt_f32_e32 vcc_lo, 0, v7
	v_cndmask_b32_e64 v6, v7, -v7, vcc_lo
	v_cmpx_ngt_f32_e32 v5, v6
	s_xor_b32 s2, exec_lo, s1
	s_cbranch_execz .LBB27_43
; %bb.40:
	v_mov_b32_e32 v8, 0
	s_mov_b32 s4, exec_lo
	v_cmpx_neq_f32_e32 0, v7
	s_cbranch_execz .LBB27_42
; %bb.41:
	v_div_scale_f32 v7, null, v6, v6, v5
	v_div_scale_f32 v10, vcc_lo, v5, v6, v5
	v_rcp_f32_e32 v8, v7
	v_fma_f32 v9, -v7, v8, 1.0
	v_fmac_f32_e32 v8, v9, v8
	v_mul_f32_e32 v9, v10, v8
	v_fma_f32 v11, -v7, v9, v10
	v_fmac_f32_e32 v9, v11, v8
	v_fma_f32 v7, -v7, v9, v10
	v_div_fmas_f32 v7, v7, v8, v9
	v_div_fixup_f32 v5, v7, v6, v5
	v_fma_f32 v5, v5, v5, 1.0
	v_mul_f32_e32 v7, 0x4f800000, v5
	v_cmp_gt_f32_e32 vcc_lo, 0xf800000, v5
	v_cndmask_b32_e32 v5, v5, v7, vcc_lo
	v_sqrt_f32_e32 v7, v5
	v_add_nc_u32_e32 v8, -1, v7
	v_add_nc_u32_e32 v9, 1, v7
	v_fma_f32 v10, -v8, v7, v5
	v_fma_f32 v11, -v9, v7, v5
	v_cmp_ge_f32_e64 s1, 0, v10
	v_cndmask_b32_e64 v7, v7, v8, s1
	v_cmp_lt_f32_e64 s1, 0, v11
	v_cndmask_b32_e64 v7, v7, v9, s1
	v_mul_f32_e32 v8, 0x37800000, v7
	v_cndmask_b32_e32 v7, v7, v8, vcc_lo
	v_cmp_class_f32_e64 vcc_lo, v5, 0x260
	v_cndmask_b32_e32 v5, v7, v5, vcc_lo
	v_mul_f32_e32 v8, v6, v5
.LBB27_42:
	s_or_b32 exec_lo, exec_lo, s4
                                        ; implicit-def: $vgpr5
                                        ; implicit-def: $vgpr6
.LBB27_43:
	s_andn2_saveexec_b32 s2, s2
	s_cbranch_execz .LBB27_45
; %bb.44:
	v_div_scale_f32 v7, null, v5, v5, v6
	v_div_scale_f32 v10, vcc_lo, v6, v5, v6
	v_rcp_f32_e32 v8, v7
	v_fma_f32 v9, -v7, v8, 1.0
	v_fmac_f32_e32 v8, v9, v8
	v_mul_f32_e32 v9, v10, v8
	v_fma_f32 v11, -v7, v9, v10
	v_fmac_f32_e32 v9, v11, v8
	v_fma_f32 v7, -v7, v9, v10
	v_div_fmas_f32 v7, v7, v8, v9
	v_div_fixup_f32 v6, v7, v5, v6
	v_fma_f32 v6, v6, v6, 1.0
	v_mul_f32_e32 v7, 0x4f800000, v6
	v_cmp_gt_f32_e32 vcc_lo, 0xf800000, v6
	v_cndmask_b32_e32 v6, v6, v7, vcc_lo
	v_sqrt_f32_e32 v7, v6
	v_add_nc_u32_e32 v8, -1, v7
	v_add_nc_u32_e32 v9, 1, v7
	v_fma_f32 v10, -v8, v7, v6
	v_fma_f32 v11, -v9, v7, v6
	v_cmp_ge_f32_e64 s1, 0, v10
	v_cndmask_b32_e64 v7, v7, v8, s1
	v_cmp_lt_f32_e64 s1, 0, v11
	v_cndmask_b32_e64 v7, v7, v9, s1
	v_mul_f32_e32 v8, 0x37800000, v7
	v_cndmask_b32_e32 v7, v7, v8, vcc_lo
	v_cmp_class_f32_e64 vcc_lo, v6, 0x260
	v_cndmask_b32_e32 v6, v7, v6, vcc_lo
	v_mul_f32_e32 v8, v5, v6
.LBB27_45:
	s_or_b32 exec_lo, exec_lo, s2
	v_mul_f32_e32 v5, 0x4f800000, v8
	v_cmp_gt_f32_e32 vcc_lo, 0xf800000, v8
	v_cndmask_b32_e32 v5, v8, v5, vcc_lo
	v_sqrt_f32_e32 v6, v5
	v_add_nc_u32_e32 v7, -1, v6
	v_add_nc_u32_e32 v9, 1, v6
	v_fma_f32 v10, -v7, v6, v5
	v_fma_f32 v11, -v9, v6, v5
	v_cmp_ge_f32_e64 s1, 0, v10
	v_cndmask_b32_e64 v6, v6, v7, s1
	v_cmp_lt_f32_e64 s1, 0, v11
	v_cndmask_b32_e64 v6, v6, v9, s1
	v_mul_f32_e32 v7, 0x37800000, v6
	v_cndmask_b32_e32 v6, v6, v7, vcc_lo
	v_cmp_class_f32_e64 vcc_lo, v5, 0x260
	v_cndmask_b32_e32 v5, v6, v5, vcc_lo
	v_mov_b32_e32 v6, 0
	v_cmp_eq_f32_e32 vcc_lo, 0, v8
	global_store_dwordx2 v[3:4], v[5:6], off
	s_and_b32 exec_lo, exec_lo, vcc_lo
	s_cbranch_execz .LBB27_50
; %bb.46:
	s_mov_b32 s2, exec_lo
	s_brev_b32 s1, -2
.LBB27_47:                              ; =>This Inner Loop Header: Depth=1
	s_ff1_i32_b32 s4, s2
	v_readlane_b32 s5, v2, s4
	s_lshl_b32 s4, 1, s4
	s_andn2_b32 s2, s2, s4
	s_min_i32 s1, s1, s5
	s_cmp_lg_u32 s2, 0
	s_cbranch_scc1 .LBB27_47
; %bb.48:
	v_mbcnt_lo_u32_b32 v2, exec_lo, 0
	s_mov_b32 s2, exec_lo
	v_cmpx_eq_u32_e32 0, v2
	s_xor_b32 s2, exec_lo, s2
	s_cbranch_execz .LBB27_50
; %bb.49:
	v_mov_b32_e32 v2, 0
	v_mov_b32_e32 v3, s1
	global_atomic_smin v2, v3, s[12:13]
.LBB27_50:
	s_or_b32 exec_lo, exec_lo, s3
	s_and_b32 exec_lo, exec_lo, s0
	s_cbranch_execz .LBB27_52
; %bb.51:
	v_add_co_u32 v0, vcc_lo, s8, v0
	v_add_co_ci_u32_e64 v1, null, s9, v1, vcc_lo
	v_mov_b32_e32 v2, 1
	s_waitcnt lgkmcnt(0)
	s_waitcnt_vscnt null, 0x0
	global_store_dword v[0:1], v2, off
.LBB27_52:
	s_endpgm
	.section	.rodata,"a",@progbits
	.p2align	6, 0x0
	.amdhsa_kernel _ZN9rocsparseL18csric0_hash_kernelILj256ELj32ELj1E21rocsparse_complex_numIfEEEviPKiS4_PT2_S4_PiS4_S7_S7_d21rocsparse_index_base_
		.amdhsa_group_segment_fixed_size 2048
		.amdhsa_private_segment_fixed_size 0
		.amdhsa_kernarg_size 84
		.amdhsa_user_sgpr_count 6
		.amdhsa_user_sgpr_private_segment_buffer 1
		.amdhsa_user_sgpr_dispatch_ptr 0
		.amdhsa_user_sgpr_queue_ptr 0
		.amdhsa_user_sgpr_kernarg_segment_ptr 1
		.amdhsa_user_sgpr_dispatch_id 0
		.amdhsa_user_sgpr_flat_scratch_init 0
		.amdhsa_user_sgpr_private_segment_size 0
		.amdhsa_wavefront_size32 1
		.amdhsa_uses_dynamic_stack 0
		.amdhsa_system_sgpr_private_segment_wavefront_offset 0
		.amdhsa_system_sgpr_workgroup_id_x 1
		.amdhsa_system_sgpr_workgroup_id_y 0
		.amdhsa_system_sgpr_workgroup_id_z 0
		.amdhsa_system_sgpr_workgroup_info 0
		.amdhsa_system_vgpr_workitem_id 0
		.amdhsa_next_free_vgpr 29
		.amdhsa_next_free_sgpr 30
		.amdhsa_reserve_vcc 1
		.amdhsa_reserve_flat_scratch 0
		.amdhsa_float_round_mode_32 0
		.amdhsa_float_round_mode_16_64 0
		.amdhsa_float_denorm_mode_32 3
		.amdhsa_float_denorm_mode_16_64 3
		.amdhsa_dx10_clamp 1
		.amdhsa_ieee_mode 1
		.amdhsa_fp16_overflow 0
		.amdhsa_workgroup_processor_mode 1
		.amdhsa_memory_ordered 1
		.amdhsa_forward_progress 1
		.amdhsa_shared_vgpr_count 0
		.amdhsa_exception_fp_ieee_invalid_op 0
		.amdhsa_exception_fp_denorm_src 0
		.amdhsa_exception_fp_ieee_div_zero 0
		.amdhsa_exception_fp_ieee_overflow 0
		.amdhsa_exception_fp_ieee_underflow 0
		.amdhsa_exception_fp_ieee_inexact 0
		.amdhsa_exception_int_div_zero 0
	.end_amdhsa_kernel
	.section	.text._ZN9rocsparseL18csric0_hash_kernelILj256ELj32ELj1E21rocsparse_complex_numIfEEEviPKiS4_PT2_S4_PiS4_S7_S7_d21rocsparse_index_base_,"axG",@progbits,_ZN9rocsparseL18csric0_hash_kernelILj256ELj32ELj1E21rocsparse_complex_numIfEEEviPKiS4_PT2_S4_PiS4_S7_S7_d21rocsparse_index_base_,comdat
.Lfunc_end27:
	.size	_ZN9rocsparseL18csric0_hash_kernelILj256ELj32ELj1E21rocsparse_complex_numIfEEEviPKiS4_PT2_S4_PiS4_S7_S7_d21rocsparse_index_base_, .Lfunc_end27-_ZN9rocsparseL18csric0_hash_kernelILj256ELj32ELj1E21rocsparse_complex_numIfEEEviPKiS4_PT2_S4_PiS4_S7_S7_d21rocsparse_index_base_
                                        ; -- End function
	.set _ZN9rocsparseL18csric0_hash_kernelILj256ELj32ELj1E21rocsparse_complex_numIfEEEviPKiS4_PT2_S4_PiS4_S7_S7_d21rocsparse_index_base_.num_vgpr, 29
	.set _ZN9rocsparseL18csric0_hash_kernelILj256ELj32ELj1E21rocsparse_complex_numIfEEEviPKiS4_PT2_S4_PiS4_S7_S7_d21rocsparse_index_base_.num_agpr, 0
	.set _ZN9rocsparseL18csric0_hash_kernelILj256ELj32ELj1E21rocsparse_complex_numIfEEEviPKiS4_PT2_S4_PiS4_S7_S7_d21rocsparse_index_base_.numbered_sgpr, 30
	.set _ZN9rocsparseL18csric0_hash_kernelILj256ELj32ELj1E21rocsparse_complex_numIfEEEviPKiS4_PT2_S4_PiS4_S7_S7_d21rocsparse_index_base_.num_named_barrier, 0
	.set _ZN9rocsparseL18csric0_hash_kernelILj256ELj32ELj1E21rocsparse_complex_numIfEEEviPKiS4_PT2_S4_PiS4_S7_S7_d21rocsparse_index_base_.private_seg_size, 0
	.set _ZN9rocsparseL18csric0_hash_kernelILj256ELj32ELj1E21rocsparse_complex_numIfEEEviPKiS4_PT2_S4_PiS4_S7_S7_d21rocsparse_index_base_.uses_vcc, 1
	.set _ZN9rocsparseL18csric0_hash_kernelILj256ELj32ELj1E21rocsparse_complex_numIfEEEviPKiS4_PT2_S4_PiS4_S7_S7_d21rocsparse_index_base_.uses_flat_scratch, 0
	.set _ZN9rocsparseL18csric0_hash_kernelILj256ELj32ELj1E21rocsparse_complex_numIfEEEviPKiS4_PT2_S4_PiS4_S7_S7_d21rocsparse_index_base_.has_dyn_sized_stack, 0
	.set _ZN9rocsparseL18csric0_hash_kernelILj256ELj32ELj1E21rocsparse_complex_numIfEEEviPKiS4_PT2_S4_PiS4_S7_S7_d21rocsparse_index_base_.has_recursion, 0
	.set _ZN9rocsparseL18csric0_hash_kernelILj256ELj32ELj1E21rocsparse_complex_numIfEEEviPKiS4_PT2_S4_PiS4_S7_S7_d21rocsparse_index_base_.has_indirect_call, 0
	.section	.AMDGPU.csdata,"",@progbits
; Kernel info:
; codeLenInByte = 2752
; TotalNumSgprs: 32
; NumVgprs: 29
; ScratchSize: 0
; MemoryBound: 0
; FloatMode: 240
; IeeeMode: 1
; LDSByteSize: 2048 bytes/workgroup (compile time only)
; SGPRBlocks: 0
; VGPRBlocks: 3
; NumSGPRsForWavesPerEU: 32
; NumVGPRsForWavesPerEU: 29
; Occupancy: 16
; WaveLimiterHint : 1
; COMPUTE_PGM_RSRC2:SCRATCH_EN: 0
; COMPUTE_PGM_RSRC2:USER_SGPR: 6
; COMPUTE_PGM_RSRC2:TRAP_HANDLER: 0
; COMPUTE_PGM_RSRC2:TGID_X_EN: 1
; COMPUTE_PGM_RSRC2:TGID_Y_EN: 0
; COMPUTE_PGM_RSRC2:TGID_Z_EN: 0
; COMPUTE_PGM_RSRC2:TIDIG_COMP_CNT: 0
	.section	.text._ZN9rocsparseL18csric0_hash_kernelILj256ELj32ELj2E21rocsparse_complex_numIfEEEviPKiS4_PT2_S4_PiS4_S7_S7_d21rocsparse_index_base_,"axG",@progbits,_ZN9rocsparseL18csric0_hash_kernelILj256ELj32ELj2E21rocsparse_complex_numIfEEEviPKiS4_PT2_S4_PiS4_S7_S7_d21rocsparse_index_base_,comdat
	.globl	_ZN9rocsparseL18csric0_hash_kernelILj256ELj32ELj2E21rocsparse_complex_numIfEEEviPKiS4_PT2_S4_PiS4_S7_S7_d21rocsparse_index_base_ ; -- Begin function _ZN9rocsparseL18csric0_hash_kernelILj256ELj32ELj2E21rocsparse_complex_numIfEEEviPKiS4_PT2_S4_PiS4_S7_S7_d21rocsparse_index_base_
	.p2align	8
	.type	_ZN9rocsparseL18csric0_hash_kernelILj256ELj32ELj2E21rocsparse_complex_numIfEEEviPKiS4_PT2_S4_PiS4_S7_S7_d21rocsparse_index_base_,@function
_ZN9rocsparseL18csric0_hash_kernelILj256ELj32ELj2E21rocsparse_complex_numIfEEEviPKiS4_PT2_S4_PiS4_S7_S7_d21rocsparse_index_base_: ; @_ZN9rocsparseL18csric0_hash_kernelILj256ELj32ELj2E21rocsparse_complex_numIfEEEviPKiS4_PT2_S4_PiS4_S7_S7_d21rocsparse_index_base_
; %bb.0:
	s_clause 0x1
	s_load_dwordx8 s[16:23], s[4:5], 0x8
	s_load_dwordx8 s[8:15], s[4:5], 0x28
	v_lshrrev_b32_e32 v1, 5, v0
	v_and_b32_e32 v15, 31, v0
	s_mov_b32 s0, 0
	v_lshlrev_b32_e32 v3, 8, v1
	v_lshlrev_b32_e32 v4, 2, v15
	v_or_b32_e32 v2, 0xffffffe0, v15
	v_or3_b32 v3, v3, v4, 0x800
	v_mov_b32_e32 v4, -1
.LBB28_1:                               ; =>This Inner Loop Header: Depth=1
	v_add_co_u32 v2, s1, v2, 32
	s_xor_b32 s1, s1, -1
	ds_write_b32 v3, v4
	v_add_nc_u32_e32 v3, 0x80, v3
	s_and_b32 s1, exec_lo, s1
	s_or_b32 s0, s1, s0
	s_andn2_b32 exec_lo, exec_lo, s0
	s_cbranch_execnz .LBB28_1
; %bb.2:
	s_or_b32 exec_lo, exec_lo, s0
	s_load_dword s0, s[4:5], 0x0
	s_lshl_b32 s1, s6, 3
	s_waitcnt lgkmcnt(0)
	buffer_gl0_inv
	v_and_or_b32 v1, 0x7fffff8, s1, v1
	v_cmp_gt_i32_e32 vcc_lo, s0, v1
	s_and_saveexec_b32 s0, vcc_lo
	s_cbranch_execz .LBB28_54
; %bb.3:
	v_lshlrev_b32_e32 v1, 2, v1
	s_load_dword s2, s[4:5], 0x50
	v_lshlrev_b32_e32 v0, 3, v0
	s_mov_b32 s0, exec_lo
	global_load_dword v3, v1, s[10:11]
	v_and_b32_e32 v0, 0x700, v0
	v_or_b32_e32 v16, 0x800, v0
	s_waitcnt vmcnt(0)
	v_ashrrev_i32_e32 v4, 31, v3
	v_lshlrev_b64 v[1:2], 2, v[3:4]
	v_add_co_u32 v4, vcc_lo, s16, v1
	v_add_co_ci_u32_e64 v5, null, s17, v2, vcc_lo
	v_add_co_u32 v7, vcc_lo, s22, v1
	v_add_co_ci_u32_e64 v8, null, s23, v2, vcc_lo
	global_load_dwordx2 v[5:6], v[4:5], off
	global_load_dword v4, v[7:8], off
	s_waitcnt vmcnt(1) lgkmcnt(0)
	v_subrev_nc_u32_e32 v5, s2, v5
	v_subrev_nc_u32_e32 v8, s2, v6
	v_add_nc_u32_e32 v6, v5, v15
	v_cmpx_lt_i32_e64 v6, v8
	s_cbranch_execz .LBB28_13
; %bb.4:
	v_mov_b32_e32 v9, -1
	s_mov_b32 s1, 0
	s_branch .LBB28_6
.LBB28_5:                               ;   in Loop: Header=BB28_6 Depth=1
	s_or_b32 exec_lo, exec_lo, s3
	v_add_nc_u32_e32 v6, 32, v6
	v_cmp_ge_i32_e32 vcc_lo, v6, v8
	s_or_b32 s1, vcc_lo, s1
	s_andn2_b32 exec_lo, exec_lo, s1
	s_cbranch_execz .LBB28_13
.LBB28_6:                               ; =>This Loop Header: Depth=1
                                        ;     Child Loop BB28_9 Depth 2
	v_ashrrev_i32_e32 v7, 31, v6
	s_mov_b32 s3, exec_lo
	v_lshlrev_b64 v[10:11], 2, v[6:7]
	v_add_co_u32 v10, vcc_lo, s18, v10
	v_add_co_ci_u32_e64 v11, null, s19, v11, vcc_lo
	global_load_dword v7, v[10:11], off
	s_waitcnt vmcnt(0)
	v_mul_lo_u32 v10, v7, 39
	v_and_b32_e32 v10, 63, v10
	v_lshl_add_u32 v11, v10, 2, v16
	ds_read_b32 v12, v11
	s_waitcnt lgkmcnt(0)
	v_cmpx_ne_u32_e64 v12, v7
	s_cbranch_execz .LBB28_5
; %bb.7:                                ;   in Loop: Header=BB28_6 Depth=1
	s_mov_b32 s6, 0
                                        ; implicit-def: $sgpr7
                                        ; implicit-def: $sgpr11
                                        ; implicit-def: $sgpr10
	s_inst_prefetch 0x1
	s_branch .LBB28_9
	.p2align	6
.LBB28_8:                               ;   in Loop: Header=BB28_9 Depth=2
	s_or_b32 exec_lo, exec_lo, s24
	s_and_b32 s24, exec_lo, s11
	s_or_b32 s6, s24, s6
	s_andn2_b32 s7, s7, exec_lo
	s_and_b32 s24, s10, exec_lo
	s_or_b32 s7, s7, s24
	s_andn2_b32 exec_lo, exec_lo, s6
	s_cbranch_execz .LBB28_11
.LBB28_9:                               ;   Parent Loop BB28_6 Depth=1
                                        ; =>  This Inner Loop Header: Depth=2
	ds_cmpst_rtn_b32 v11, v11, v9, v7
	v_mov_b32_e32 v12, v10
	s_or_b32 s10, s10, exec_lo
	s_or_b32 s11, s11, exec_lo
                                        ; implicit-def: $vgpr10
	s_waitcnt lgkmcnt(0)
	v_cmp_ne_u32_e32 vcc_lo, -1, v11
                                        ; implicit-def: $vgpr11
	s_and_saveexec_b32 s24, vcc_lo
	s_cbranch_execz .LBB28_8
; %bb.10:                               ;   in Loop: Header=BB28_9 Depth=2
	v_add_nc_u32_e32 v10, 1, v12
	s_andn2_b32 s11, s11, exec_lo
	s_andn2_b32 s10, s10, exec_lo
	v_and_b32_e32 v10, 63, v10
	v_lshl_add_u32 v11, v10, 2, v16
	ds_read_b32 v13, v11
	s_waitcnt lgkmcnt(0)
	v_cmp_eq_u32_e32 vcc_lo, v13, v7
	s_and_b32 s25, vcc_lo, exec_lo
	s_or_b32 s11, s11, s25
	s_branch .LBB28_8
.LBB28_11:                              ;   in Loop: Header=BB28_6 Depth=1
	s_inst_prefetch 0x2
	s_or_b32 exec_lo, exec_lo, s6
	s_and_saveexec_b32 s6, s7
	s_xor_b32 s6, exec_lo, s6
	s_cbranch_execz .LBB28_5
; %bb.12:                               ;   in Loop: Header=BB28_6 Depth=1
	v_lshl_add_u32 v7, v12, 2, v0
	ds_write_b32 v7, v6
	s_branch .LBB28_5
.LBB28_13:
	s_or_b32 exec_lo, exec_lo, s0
	v_mov_b32_e32 v17, 0
	v_mov_b32_e32 v18, 0
	s_mov_b32 s3, exec_lo
	s_waitcnt vmcnt(0) lgkmcnt(0)
	buffer_gl0_inv
	v_cmpx_lt_i32_e64 v5, v4
	s_cbranch_execz .LBB28_35
; %bb.14:
	v_mbcnt_lo_u32_b32 v19, -1, 0
	v_add_nc_u32_e32 v20, -1, v4
	v_subrev_nc_u32_e32 v21, s2, v15
	v_cmp_eq_u32_e64 s0, 31, v15
	v_mov_b32_e32 v17, 0
	v_xor_b32_e32 v22, 16, v19
	v_xor_b32_e32 v23, 8, v19
	;; [unrolled: 1-line block ×5, first 2 shown]
	v_mov_b32_e32 v18, 0
	s_mov_b32 s6, 0
	s_branch .LBB28_17
.LBB28_15:                              ;   in Loop: Header=BB28_17 Depth=1
	s_or_b32 exec_lo, exec_lo, s7
	v_add_nc_u32_e32 v5, 1, v5
	v_cmp_ge_i32_e32 vcc_lo, v5, v4
	s_orn2_b32 s7, vcc_lo, exec_lo
.LBB28_16:                              ;   in Loop: Header=BB28_17 Depth=1
	s_or_b32 exec_lo, exec_lo, s1
	s_and_b32 s1, exec_lo, s7
	s_or_b32 s6, s1, s6
	s_andn2_b32 exec_lo, exec_lo, s6
	s_cbranch_execz .LBB28_34
.LBB28_17:                              ; =>This Loop Header: Depth=1
                                        ;     Child Loop BB28_18 Depth 2
                                        ;     Child Loop BB28_24 Depth 2
                                        ;       Child Loop BB28_27 Depth 3
	v_ashrrev_i32_e32 v6, 31, v5
	s_mov_b32 s1, 0
	v_lshlrev_b64 v[7:8], 2, v[5:6]
	v_lshlrev_b64 v[9:10], 3, v[5:6]
	v_add_co_u32 v7, vcc_lo, s18, v7
	v_add_co_ci_u32_e64 v8, null, s19, v8, vcc_lo
	v_add_co_u32 v6, vcc_lo, s20, v9
	global_load_dword v7, v[7:8], off
	s_waitcnt vmcnt(0)
	v_subrev_nc_u32_e32 v7, s2, v7
	v_ashrrev_i32_e32 v8, 31, v7
	s_waitcnt lgkmcnt(0)
	v_lshlrev_b64 v[27:28], 2, v[7:8]
	v_add_co_ci_u32_e64 v7, null, s21, v10, vcc_lo
	v_add_co_u32 v10, vcc_lo, s16, v27
	v_add_co_ci_u32_e64 v11, null, s17, v28, vcc_lo
	v_add_co_u32 v12, vcc_lo, s22, v27
	v_add_co_ci_u32_e64 v13, null, s23, v28, vcc_lo
	global_load_dwordx2 v[8:9], v[6:7], off
	global_load_dword v14, v[10:11], off
	global_load_dword v12, v[12:13], off
	v_add_co_u32 v10, vcc_lo, s8, v27
	v_add_co_ci_u32_e64 v11, null, s9, v28, vcc_lo
.LBB28_18:                              ;   Parent Loop BB28_17 Depth=1
                                        ; =>  This Inner Loop Header: Depth=2
	global_load_dword v13, v[10:11], off glc dlc
	s_waitcnt vmcnt(0)
	v_cmp_ne_u32_e32 vcc_lo, 0, v13
	s_or_b32 s1, vcc_lo, s1
	s_andn2_b32 exec_lo, exec_lo, s1
	s_cbranch_execnz .LBB28_18
; %bb.19:                               ;   in Loop: Header=BB28_17 Depth=1
	s_or_b32 exec_lo, exec_lo, s1
	v_cmp_eq_u32_e32 vcc_lo, -1, v12
	buffer_gl1_inv
	buffer_gl0_inv
	s_mov_b32 s7, -1
	v_cndmask_b32_e32 v12, v12, v20, vcc_lo
	v_ashrrev_i32_e32 v13, 31, v12
	v_lshlrev_b64 v[10:11], 3, v[12:13]
	v_add_co_u32 v10, vcc_lo, s20, v10
	v_add_co_ci_u32_e64 v11, null, s21, v11, vcc_lo
	global_load_dwordx2 v[10:11], v[10:11], off
	s_waitcnt vmcnt(0)
	v_cmp_neq_f32_e32 vcc_lo, 0, v10
	v_cmp_neq_f32_e64 s1, 0, v11
	s_or_b32 s10, vcc_lo, s1
	s_and_saveexec_b32 s1, s10
	s_cbranch_execz .LBB28_16
; %bb.20:                               ;   in Loop: Header=BB28_17 Depth=1
	v_add_nc_u32_e32 v13, v21, v14
	v_mov_b32_e32 v27, 0
	v_mov_b32_e32 v28, 0
	s_mov_b32 s7, exec_lo
	v_cmpx_lt_i32_e64 v13, v12
	s_cbranch_execz .LBB28_32
; %bb.21:                               ;   in Loop: Header=BB28_17 Depth=1
	v_mov_b32_e32 v27, 0
	v_mov_b32_e32 v28, 0
	s_mov_b32 s10, 0
	s_branch .LBB28_24
.LBB28_22:                              ;   in Loop: Header=BB28_24 Depth=2
	s_or_b32 exec_lo, exec_lo, s24
.LBB28_23:                              ;   in Loop: Header=BB28_24 Depth=2
	s_or_b32 exec_lo, exec_lo, s11
	v_add_nc_u32_e32 v13, 32, v13
	v_cmp_ge_i32_e32 vcc_lo, v13, v12
	s_or_b32 s10, vcc_lo, s10
	s_andn2_b32 exec_lo, exec_lo, s10
	s_cbranch_execz .LBB28_31
.LBB28_24:                              ;   Parent Loop BB28_17 Depth=1
                                        ; =>  This Loop Header: Depth=2
                                        ;       Child Loop BB28_27 Depth 3
	v_ashrrev_i32_e32 v14, 31, v13
	s_mov_b32 s11, exec_lo
	v_lshlrev_b64 v[29:30], 2, v[13:14]
	v_add_co_u32 v29, vcc_lo, s18, v29
	v_add_co_ci_u32_e64 v30, null, s19, v30, vcc_lo
	global_load_dword v29, v[29:30], off
	s_waitcnt vmcnt(0)
	v_mul_lo_u32 v30, v29, 39
	v_and_b32_e32 v32, 63, v30
	v_lshl_add_u32 v30, v32, 2, v16
	ds_read_b32 v31, v30
	s_waitcnt lgkmcnt(0)
	v_cmpx_ne_u32_e32 -1, v31
	s_cbranch_execz .LBB28_23
; %bb.25:                               ;   in Loop: Header=BB28_24 Depth=2
	s_mov_b32 s25, 0
                                        ; implicit-def: $sgpr24
                                        ; implicit-def: $sgpr27
                                        ; implicit-def: $sgpr26
	s_inst_prefetch 0x1
	s_branch .LBB28_27
	.p2align	6
.LBB28_26:                              ;   in Loop: Header=BB28_27 Depth=3
	s_or_b32 exec_lo, exec_lo, s28
	s_and_b32 s28, exec_lo, s27
	s_or_b32 s25, s28, s25
	s_andn2_b32 s24, s24, exec_lo
	s_and_b32 s28, s26, exec_lo
	s_or_b32 s24, s24, s28
	s_andn2_b32 exec_lo, exec_lo, s25
	s_cbranch_execz .LBB28_29
.LBB28_27:                              ;   Parent Loop BB28_17 Depth=1
                                        ;     Parent Loop BB28_24 Depth=2
                                        ; =>    This Inner Loop Header: Depth=3
	v_mov_b32_e32 v30, v32
	v_cmp_ne_u32_e32 vcc_lo, v31, v29
	s_or_b32 s26, s26, exec_lo
	s_or_b32 s27, s27, exec_lo
                                        ; implicit-def: $vgpr32
                                        ; implicit-def: $vgpr31
	s_and_saveexec_b32 s28, vcc_lo
	s_cbranch_execz .LBB28_26
; %bb.28:                               ;   in Loop: Header=BB28_27 Depth=3
	v_add_nc_u32_e32 v31, 1, v30
	s_andn2_b32 s27, s27, exec_lo
	s_andn2_b32 s26, s26, exec_lo
	v_and_b32_e32 v32, 63, v31
	v_lshl_add_u32 v31, v32, 2, v16
	ds_read_b32 v31, v31
	s_waitcnt lgkmcnt(0)
	v_cmp_eq_u32_e32 vcc_lo, -1, v31
	s_and_b32 s29, vcc_lo, exec_lo
	s_or_b32 s27, s27, s29
	s_branch .LBB28_26
.LBB28_29:                              ;   in Loop: Header=BB28_24 Depth=2
	s_inst_prefetch 0x2
	s_or_b32 exec_lo, exec_lo, s25
	s_and_saveexec_b32 s25, s24
	s_xor_b32 s24, exec_lo, s25
	s_cbranch_execz .LBB28_22
; %bb.30:                               ;   in Loop: Header=BB28_24 Depth=2
	v_lshl_add_u32 v29, v30, 2, v0
	v_lshlrev_b64 v[31:32], 3, v[13:14]
	ds_read_b32 v29, v29
	v_add_co_u32 v31, vcc_lo, s20, v31
	v_add_co_ci_u32_e64 v32, null, s21, v32, vcc_lo
	s_waitcnt lgkmcnt(0)
	v_ashrrev_i32_e32 v30, 31, v29
	v_lshlrev_b64 v[29:30], 3, v[29:30]
	v_add_co_u32 v29, vcc_lo, s20, v29
	v_add_co_ci_u32_e64 v30, null, s21, v30, vcc_lo
	s_clause 0x1
	global_load_dwordx2 v[31:32], v[31:32], off
	global_load_dwordx2 v[29:30], v[29:30], off
	s_waitcnt vmcnt(0)
	v_fmac_f32_e32 v28, v31, v29
	v_fmac_f32_e32 v27, v32, v29
	;; [unrolled: 1-line block ×3, first 2 shown]
	v_fma_f32 v27, v31, -v30, v27
	s_branch .LBB28_22
.LBB28_31:                              ;   in Loop: Header=BB28_17 Depth=1
	s_or_b32 exec_lo, exec_lo, s10
.LBB28_32:                              ;   in Loop: Header=BB28_17 Depth=1
	s_or_b32 exec_lo, exec_lo, s7
	v_cmp_gt_i32_e32 vcc_lo, 32, v22
	v_cndmask_b32_e32 v12, v19, v22, vcc_lo
	v_cmp_gt_i32_e32 vcc_lo, 32, v23
	v_lshlrev_b32_e32 v12, 2, v12
	v_cndmask_b32_e32 v14, v19, v23, vcc_lo
	v_cmp_gt_i32_e32 vcc_lo, 32, v24
	ds_bpermute_b32 v13, v12, v28
	ds_bpermute_b32 v12, v12, v27
	v_lshlrev_b32_e32 v14, 2, v14
	s_waitcnt lgkmcnt(1)
	v_add_f32_e32 v13, v28, v13
	s_waitcnt lgkmcnt(0)
	v_add_f32_e32 v12, v27, v12
	v_cndmask_b32_e32 v28, v19, v24, vcc_lo
	v_cmp_gt_i32_e32 vcc_lo, 32, v25
	ds_bpermute_b32 v27, v14, v13
	ds_bpermute_b32 v14, v14, v12
	v_lshlrev_b32_e32 v28, 2, v28
	s_waitcnt lgkmcnt(1)
	v_add_f32_e32 v13, v13, v27
	s_waitcnt lgkmcnt(0)
	v_add_f32_e32 v12, v12, v14
	ds_bpermute_b32 v14, v28, v13
	ds_bpermute_b32 v27, v28, v12
	v_cndmask_b32_e32 v28, v19, v25, vcc_lo
	v_cmp_gt_i32_e32 vcc_lo, 32, v26
	v_lshlrev_b32_e32 v28, 2, v28
	s_waitcnt lgkmcnt(1)
	v_add_f32_e32 v13, v13, v14
	s_waitcnt lgkmcnt(0)
	v_add_f32_e32 v14, v12, v27
	ds_bpermute_b32 v12, v28, v13
	ds_bpermute_b32 v27, v28, v14
	v_cndmask_b32_e32 v28, v19, v26, vcc_lo
	v_lshlrev_b32_e32 v28, 2, v28
	s_waitcnt lgkmcnt(1)
	v_add_f32_e32 v12, v13, v12
	s_waitcnt lgkmcnt(0)
	v_add_f32_e32 v14, v14, v27
	ds_bpermute_b32 v13, v28, v12
	ds_bpermute_b32 v27, v28, v14
	s_and_saveexec_b32 s7, s0
	s_cbranch_execz .LBB28_15
; %bb.33:                               ;   in Loop: Header=BB28_17 Depth=1
	v_mul_f32_e32 v28, v11, v11
	s_waitcnt lgkmcnt(0)
	v_add_f32_e32 v14, v14, v27
	v_add_f32_e32 v12, v12, v13
	v_fmac_f32_e32 v28, v10, v10
	v_sub_f32_e32 v12, v8, v12
	v_div_scale_f32 v29, null, v28, v28, 1.0
	v_div_scale_f32 v32, vcc_lo, 1.0, v28, 1.0
	v_rcp_f32_e32 v30, v29
	v_fma_f32 v31, -v29, v30, 1.0
	v_fmac_f32_e32 v30, v31, v30
	v_mul_f32_e32 v31, v32, v30
	v_fma_f32 v33, -v29, v31, v32
	v_fmac_f32_e32 v31, v33, v30
	v_fma_f32 v29, -v29, v31, v32
	v_div_fmas_f32 v29, v29, v30, v31
	v_fma_f32 v30, v10, 0, -v11
	v_fma_f32 v10, 0, v11, v10
	v_sub_f32_e32 v11, v9, v14
	v_div_fixup_f32 v27, v29, v28, 1.0
	v_mul_f32_e32 v9, v30, v27
	v_mul_f32_e32 v10, v10, v27
	v_mul_f32_e64 v8, v9, -v11
	v_mul_f32_e32 v9, v9, v12
	v_fmac_f32_e32 v8, v12, v10
	v_fmac_f32_e32 v9, v11, v10
	;; [unrolled: 1-line block ×4, first 2 shown]
	global_store_dwordx2 v[6:7], v[8:9], off
	v_fmac_f32_e32 v18, v9, v9
	v_fma_f32 v17, v8, -v9, v17
	s_branch .LBB28_15
.LBB28_34:
	s_or_b32 exec_lo, exec_lo, s6
.LBB28_35:
	s_or_b32 exec_lo, exec_lo, s3
	v_cmp_eq_u32_e64 s0, 31, v15
	v_cmp_lt_i32_e32 vcc_lo, -1, v4
	s_and_b32 s1, s0, vcc_lo
	s_and_saveexec_b32 s3, s1
	s_cbranch_execz .LBB28_52
; %bb.36:
	v_mov_b32_e32 v5, 0
	s_load_dwordx2 s[4:5], s[4:5], 0x48
	v_add_nc_u32_e32 v0, s2, v3
	v_lshlrev_b64 v[4:5], 3, v[4:5]
	v_add_co_u32 v4, vcc_lo, s20, v4
	v_add_co_ci_u32_e64 v5, null, s21, v5, vcc_lo
	global_load_dwordx2 v[6:7], v[4:5], off
	s_waitcnt lgkmcnt(0)
	v_mul_f64 v[8:9], s[4:5], s[4:5]
	s_waitcnt vmcnt(0)
	v_sub_f32_e32 v6, v6, v18
	v_sub_f32_e32 v7, v7, v17
	v_cvt_f64_f32_e32 v[10:11], v6
	v_cmp_eq_f32_e64 s1, 0, v7
	v_cmp_ge_f64_e32 vcc_lo, v[8:9], v[10:11]
	s_and_b32 s2, vcc_lo, s1
	s_and_saveexec_b32 s1, s2
	s_cbranch_execz .LBB28_41
; %bb.37:
	s_mov_b32 s4, exec_lo
	s_brev_b32 s2, -2
.LBB28_38:                              ; =>This Inner Loop Header: Depth=1
	s_ff1_i32_b32 s5, s4
	v_readlane_b32 s6, v0, s5
	s_lshl_b32 s5, 1, s5
	s_andn2_b32 s4, s4, s5
	s_min_i32 s2, s2, s6
	s_cmp_lg_u32 s4, 0
	s_cbranch_scc1 .LBB28_38
; %bb.39:
	v_mbcnt_lo_u32_b32 v3, exec_lo, 0
	s_mov_b32 s4, exec_lo
	v_cmpx_eq_u32_e32 0, v3
	s_xor_b32 s4, exec_lo, s4
	s_cbranch_execz .LBB28_41
; %bb.40:
	v_mov_b32_e32 v3, 0
	v_mov_b32_e32 v8, s2
	global_atomic_smin v3, v8, s[14:15]
.LBB28_41:
	s_or_b32 exec_lo, exec_lo, s1
	v_cmp_gt_f32_e32 vcc_lo, 0, v6
                                        ; implicit-def: $vgpr8
	s_mov_b32 s1, exec_lo
	v_cndmask_b32_e64 v3, v6, -v6, vcc_lo
	v_cmp_gt_f32_e32 vcc_lo, 0, v7
	v_cndmask_b32_e64 v6, v7, -v7, vcc_lo
	v_cmpx_ngt_f32_e32 v3, v6
	s_xor_b32 s2, exec_lo, s1
	s_cbranch_execz .LBB28_45
; %bb.42:
	v_mov_b32_e32 v8, 0
	s_mov_b32 s4, exec_lo
	v_cmpx_neq_f32_e32 0, v7
	s_cbranch_execz .LBB28_44
; %bb.43:
	v_div_scale_f32 v7, null, v6, v6, v3
	v_div_scale_f32 v10, vcc_lo, v3, v6, v3
	v_rcp_f32_e32 v8, v7
	v_fma_f32 v9, -v7, v8, 1.0
	v_fmac_f32_e32 v8, v9, v8
	v_mul_f32_e32 v9, v10, v8
	v_fma_f32 v11, -v7, v9, v10
	v_fmac_f32_e32 v9, v11, v8
	v_fma_f32 v7, -v7, v9, v10
	v_div_fmas_f32 v7, v7, v8, v9
	v_div_fixup_f32 v3, v7, v6, v3
	v_fma_f32 v3, v3, v3, 1.0
	v_mul_f32_e32 v7, 0x4f800000, v3
	v_cmp_gt_f32_e32 vcc_lo, 0xf800000, v3
	v_cndmask_b32_e32 v3, v3, v7, vcc_lo
	v_sqrt_f32_e32 v7, v3
	v_add_nc_u32_e32 v8, -1, v7
	v_add_nc_u32_e32 v9, 1, v7
	v_fma_f32 v10, -v8, v7, v3
	v_fma_f32 v11, -v9, v7, v3
	v_cmp_ge_f32_e64 s1, 0, v10
	v_cndmask_b32_e64 v7, v7, v8, s1
	v_cmp_lt_f32_e64 s1, 0, v11
	v_cndmask_b32_e64 v7, v7, v9, s1
	v_mul_f32_e32 v8, 0x37800000, v7
	v_cndmask_b32_e32 v7, v7, v8, vcc_lo
	v_cmp_class_f32_e64 vcc_lo, v3, 0x260
	v_cndmask_b32_e32 v3, v7, v3, vcc_lo
	v_mul_f32_e32 v8, v6, v3
.LBB28_44:
	s_or_b32 exec_lo, exec_lo, s4
                                        ; implicit-def: $vgpr3
                                        ; implicit-def: $vgpr6
.LBB28_45:
	s_andn2_saveexec_b32 s2, s2
	s_cbranch_execz .LBB28_47
; %bb.46:
	v_div_scale_f32 v7, null, v3, v3, v6
	v_div_scale_f32 v10, vcc_lo, v6, v3, v6
	v_rcp_f32_e32 v8, v7
	v_fma_f32 v9, -v7, v8, 1.0
	v_fmac_f32_e32 v8, v9, v8
	v_mul_f32_e32 v9, v10, v8
	v_fma_f32 v11, -v7, v9, v10
	v_fmac_f32_e32 v9, v11, v8
	v_fma_f32 v7, -v7, v9, v10
	v_div_fmas_f32 v7, v7, v8, v9
	v_div_fixup_f32 v6, v7, v3, v6
	v_fma_f32 v6, v6, v6, 1.0
	v_mul_f32_e32 v7, 0x4f800000, v6
	v_cmp_gt_f32_e32 vcc_lo, 0xf800000, v6
	v_cndmask_b32_e32 v6, v6, v7, vcc_lo
	v_sqrt_f32_e32 v7, v6
	v_add_nc_u32_e32 v8, -1, v7
	v_add_nc_u32_e32 v9, 1, v7
	v_fma_f32 v10, -v8, v7, v6
	v_fma_f32 v11, -v9, v7, v6
	v_cmp_ge_f32_e64 s1, 0, v10
	v_cndmask_b32_e64 v7, v7, v8, s1
	v_cmp_lt_f32_e64 s1, 0, v11
	v_cndmask_b32_e64 v7, v7, v9, s1
	v_mul_f32_e32 v8, 0x37800000, v7
	v_cndmask_b32_e32 v7, v7, v8, vcc_lo
	v_cmp_class_f32_e64 vcc_lo, v6, 0x260
	v_cndmask_b32_e32 v6, v7, v6, vcc_lo
	v_mul_f32_e32 v8, v3, v6
.LBB28_47:
	s_or_b32 exec_lo, exec_lo, s2
	v_mul_f32_e32 v3, 0x4f800000, v8
	v_cmp_gt_f32_e32 vcc_lo, 0xf800000, v8
	v_cndmask_b32_e32 v3, v8, v3, vcc_lo
	v_sqrt_f32_e32 v6, v3
	v_add_nc_u32_e32 v7, -1, v6
	v_add_nc_u32_e32 v9, 1, v6
	v_fma_f32 v10, -v7, v6, v3
	v_fma_f32 v11, -v9, v6, v3
	v_cmp_ge_f32_e64 s1, 0, v10
	v_cndmask_b32_e64 v6, v6, v7, s1
	v_cmp_lt_f32_e64 s1, 0, v11
	v_cndmask_b32_e64 v6, v6, v9, s1
	v_mul_f32_e32 v7, 0x37800000, v6
	v_cndmask_b32_e32 v6, v6, v7, vcc_lo
	v_cmp_class_f32_e64 vcc_lo, v3, 0x260
	v_mov_b32_e32 v7, 0
	v_cndmask_b32_e32 v6, v6, v3, vcc_lo
	v_cmp_eq_f32_e32 vcc_lo, 0, v8
	global_store_dwordx2 v[4:5], v[6:7], off
	s_and_b32 exec_lo, exec_lo, vcc_lo
	s_cbranch_execz .LBB28_52
; %bb.48:
	s_mov_b32 s2, exec_lo
	s_brev_b32 s1, -2
.LBB28_49:                              ; =>This Inner Loop Header: Depth=1
	s_ff1_i32_b32 s4, s2
	v_readlane_b32 s5, v0, s4
	s_lshl_b32 s4, 1, s4
	s_andn2_b32 s2, s2, s4
	s_min_i32 s1, s1, s5
	s_cmp_lg_u32 s2, 0
	s_cbranch_scc1 .LBB28_49
; %bb.50:
	v_mbcnt_lo_u32_b32 v0, exec_lo, 0
	s_mov_b32 s2, exec_lo
	v_cmpx_eq_u32_e32 0, v0
	s_xor_b32 s2, exec_lo, s2
	s_cbranch_execz .LBB28_52
; %bb.51:
	v_mov_b32_e32 v0, 0
	v_mov_b32_e32 v3, s1
	global_atomic_smin v0, v3, s[12:13]
.LBB28_52:
	s_or_b32 exec_lo, exec_lo, s3
	s_and_b32 exec_lo, exec_lo, s0
	s_cbranch_execz .LBB28_54
; %bb.53:
	v_add_co_u32 v0, vcc_lo, s8, v1
	v_add_co_ci_u32_e64 v1, null, s9, v2, vcc_lo
	v_mov_b32_e32 v2, 1
	s_waitcnt lgkmcnt(0)
	s_waitcnt_vscnt null, 0x0
	global_store_dword v[0:1], v2, off
.LBB28_54:
	s_endpgm
	.section	.rodata,"a",@progbits
	.p2align	6, 0x0
	.amdhsa_kernel _ZN9rocsparseL18csric0_hash_kernelILj256ELj32ELj2E21rocsparse_complex_numIfEEEviPKiS4_PT2_S4_PiS4_S7_S7_d21rocsparse_index_base_
		.amdhsa_group_segment_fixed_size 4096
		.amdhsa_private_segment_fixed_size 0
		.amdhsa_kernarg_size 84
		.amdhsa_user_sgpr_count 6
		.amdhsa_user_sgpr_private_segment_buffer 1
		.amdhsa_user_sgpr_dispatch_ptr 0
		.amdhsa_user_sgpr_queue_ptr 0
		.amdhsa_user_sgpr_kernarg_segment_ptr 1
		.amdhsa_user_sgpr_dispatch_id 0
		.amdhsa_user_sgpr_flat_scratch_init 0
		.amdhsa_user_sgpr_private_segment_size 0
		.amdhsa_wavefront_size32 1
		.amdhsa_uses_dynamic_stack 0
		.amdhsa_system_sgpr_private_segment_wavefront_offset 0
		.amdhsa_system_sgpr_workgroup_id_x 1
		.amdhsa_system_sgpr_workgroup_id_y 0
		.amdhsa_system_sgpr_workgroup_id_z 0
		.amdhsa_system_sgpr_workgroup_info 0
		.amdhsa_system_vgpr_workitem_id 0
		.amdhsa_next_free_vgpr 34
		.amdhsa_next_free_sgpr 30
		.amdhsa_reserve_vcc 1
		.amdhsa_reserve_flat_scratch 0
		.amdhsa_float_round_mode_32 0
		.amdhsa_float_round_mode_16_64 0
		.amdhsa_float_denorm_mode_32 3
		.amdhsa_float_denorm_mode_16_64 3
		.amdhsa_dx10_clamp 1
		.amdhsa_ieee_mode 1
		.amdhsa_fp16_overflow 0
		.amdhsa_workgroup_processor_mode 1
		.amdhsa_memory_ordered 1
		.amdhsa_forward_progress 1
		.amdhsa_shared_vgpr_count 0
		.amdhsa_exception_fp_ieee_invalid_op 0
		.amdhsa_exception_fp_denorm_src 0
		.amdhsa_exception_fp_ieee_div_zero 0
		.amdhsa_exception_fp_ieee_overflow 0
		.amdhsa_exception_fp_ieee_underflow 0
		.amdhsa_exception_fp_ieee_inexact 0
		.amdhsa_exception_int_div_zero 0
	.end_amdhsa_kernel
	.section	.text._ZN9rocsparseL18csric0_hash_kernelILj256ELj32ELj2E21rocsparse_complex_numIfEEEviPKiS4_PT2_S4_PiS4_S7_S7_d21rocsparse_index_base_,"axG",@progbits,_ZN9rocsparseL18csric0_hash_kernelILj256ELj32ELj2E21rocsparse_complex_numIfEEEviPKiS4_PT2_S4_PiS4_S7_S7_d21rocsparse_index_base_,comdat
.Lfunc_end28:
	.size	_ZN9rocsparseL18csric0_hash_kernelILj256ELj32ELj2E21rocsparse_complex_numIfEEEviPKiS4_PT2_S4_PiS4_S7_S7_d21rocsparse_index_base_, .Lfunc_end28-_ZN9rocsparseL18csric0_hash_kernelILj256ELj32ELj2E21rocsparse_complex_numIfEEEviPKiS4_PT2_S4_PiS4_S7_S7_d21rocsparse_index_base_
                                        ; -- End function
	.set _ZN9rocsparseL18csric0_hash_kernelILj256ELj32ELj2E21rocsparse_complex_numIfEEEviPKiS4_PT2_S4_PiS4_S7_S7_d21rocsparse_index_base_.num_vgpr, 34
	.set _ZN9rocsparseL18csric0_hash_kernelILj256ELj32ELj2E21rocsparse_complex_numIfEEEviPKiS4_PT2_S4_PiS4_S7_S7_d21rocsparse_index_base_.num_agpr, 0
	.set _ZN9rocsparseL18csric0_hash_kernelILj256ELj32ELj2E21rocsparse_complex_numIfEEEviPKiS4_PT2_S4_PiS4_S7_S7_d21rocsparse_index_base_.numbered_sgpr, 30
	.set _ZN9rocsparseL18csric0_hash_kernelILj256ELj32ELj2E21rocsparse_complex_numIfEEEviPKiS4_PT2_S4_PiS4_S7_S7_d21rocsparse_index_base_.num_named_barrier, 0
	.set _ZN9rocsparseL18csric0_hash_kernelILj256ELj32ELj2E21rocsparse_complex_numIfEEEviPKiS4_PT2_S4_PiS4_S7_S7_d21rocsparse_index_base_.private_seg_size, 0
	.set _ZN9rocsparseL18csric0_hash_kernelILj256ELj32ELj2E21rocsparse_complex_numIfEEEviPKiS4_PT2_S4_PiS4_S7_S7_d21rocsparse_index_base_.uses_vcc, 1
	.set _ZN9rocsparseL18csric0_hash_kernelILj256ELj32ELj2E21rocsparse_complex_numIfEEEviPKiS4_PT2_S4_PiS4_S7_S7_d21rocsparse_index_base_.uses_flat_scratch, 0
	.set _ZN9rocsparseL18csric0_hash_kernelILj256ELj32ELj2E21rocsparse_complex_numIfEEEviPKiS4_PT2_S4_PiS4_S7_S7_d21rocsparse_index_base_.has_dyn_sized_stack, 0
	.set _ZN9rocsparseL18csric0_hash_kernelILj256ELj32ELj2E21rocsparse_complex_numIfEEEviPKiS4_PT2_S4_PiS4_S7_S7_d21rocsparse_index_base_.has_recursion, 0
	.set _ZN9rocsparseL18csric0_hash_kernelILj256ELj32ELj2E21rocsparse_complex_numIfEEEviPKiS4_PT2_S4_PiS4_S7_S7_d21rocsparse_index_base_.has_indirect_call, 0
	.section	.AMDGPU.csdata,"",@progbits
; Kernel info:
; codeLenInByte = 2796
; TotalNumSgprs: 32
; NumVgprs: 34
; ScratchSize: 0
; MemoryBound: 0
; FloatMode: 240
; IeeeMode: 1
; LDSByteSize: 4096 bytes/workgroup (compile time only)
; SGPRBlocks: 0
; VGPRBlocks: 4
; NumSGPRsForWavesPerEU: 32
; NumVGPRsForWavesPerEU: 34
; Occupancy: 16
; WaveLimiterHint : 1
; COMPUTE_PGM_RSRC2:SCRATCH_EN: 0
; COMPUTE_PGM_RSRC2:USER_SGPR: 6
; COMPUTE_PGM_RSRC2:TRAP_HANDLER: 0
; COMPUTE_PGM_RSRC2:TGID_X_EN: 1
; COMPUTE_PGM_RSRC2:TGID_Y_EN: 0
; COMPUTE_PGM_RSRC2:TGID_Z_EN: 0
; COMPUTE_PGM_RSRC2:TIDIG_COMP_CNT: 0
	.section	.text._ZN9rocsparseL18csric0_hash_kernelILj256ELj32ELj4E21rocsparse_complex_numIfEEEviPKiS4_PT2_S4_PiS4_S7_S7_d21rocsparse_index_base_,"axG",@progbits,_ZN9rocsparseL18csric0_hash_kernelILj256ELj32ELj4E21rocsparse_complex_numIfEEEviPKiS4_PT2_S4_PiS4_S7_S7_d21rocsparse_index_base_,comdat
	.globl	_ZN9rocsparseL18csric0_hash_kernelILj256ELj32ELj4E21rocsparse_complex_numIfEEEviPKiS4_PT2_S4_PiS4_S7_S7_d21rocsparse_index_base_ ; -- Begin function _ZN9rocsparseL18csric0_hash_kernelILj256ELj32ELj4E21rocsparse_complex_numIfEEEviPKiS4_PT2_S4_PiS4_S7_S7_d21rocsparse_index_base_
	.p2align	8
	.type	_ZN9rocsparseL18csric0_hash_kernelILj256ELj32ELj4E21rocsparse_complex_numIfEEEviPKiS4_PT2_S4_PiS4_S7_S7_d21rocsparse_index_base_,@function
_ZN9rocsparseL18csric0_hash_kernelILj256ELj32ELj4E21rocsparse_complex_numIfEEEviPKiS4_PT2_S4_PiS4_S7_S7_d21rocsparse_index_base_: ; @_ZN9rocsparseL18csric0_hash_kernelILj256ELj32ELj4E21rocsparse_complex_numIfEEEviPKiS4_PT2_S4_PiS4_S7_S7_d21rocsparse_index_base_
; %bb.0:
	s_clause 0x1
	s_load_dwordx8 s[16:23], s[4:5], 0x8
	s_load_dwordx8 s[8:15], s[4:5], 0x28
	v_lshrrev_b32_e32 v1, 5, v0
	v_and_b32_e32 v15, 31, v0
	s_mov_b32 s0, 0
	v_lshlrev_b32_e32 v3, 9, v1
	v_lshlrev_b32_e32 v4, 2, v15
	v_or_b32_e32 v2, 0xffffffe0, v15
	v_or3_b32 v3, v3, v4, 0x1000
	v_mov_b32_e32 v4, -1
.LBB29_1:                               ; =>This Inner Loop Header: Depth=1
	v_add_nc_u32_e32 v2, 32, v2
	ds_write_b32 v3, v4
	v_add_nc_u32_e32 v3, 0x80, v3
	v_cmp_lt_u32_e32 vcc_lo, 0x5f, v2
	s_or_b32 s0, vcc_lo, s0
	s_andn2_b32 exec_lo, exec_lo, s0
	s_cbranch_execnz .LBB29_1
; %bb.2:
	s_or_b32 exec_lo, exec_lo, s0
	s_load_dword s0, s[4:5], 0x0
	s_lshl_b32 s1, s6, 3
	s_waitcnt lgkmcnt(0)
	buffer_gl0_inv
	v_and_or_b32 v1, 0x7fffff8, s1, v1
	v_cmp_gt_i32_e32 vcc_lo, s0, v1
	s_and_saveexec_b32 s0, vcc_lo
	s_cbranch_execz .LBB29_54
; %bb.3:
	v_lshlrev_b32_e32 v1, 2, v1
	s_load_dword s2, s[4:5], 0x50
	v_lshlrev_b32_e32 v0, 4, v0
	s_mov_b32 s0, exec_lo
	global_load_dword v3, v1, s[10:11]
	v_and_b32_e32 v0, 0xe00, v0
	v_or_b32_e32 v16, 0x1000, v0
	s_waitcnt vmcnt(0)
	v_ashrrev_i32_e32 v4, 31, v3
	v_lshlrev_b64 v[1:2], 2, v[3:4]
	v_add_co_u32 v4, vcc_lo, s16, v1
	v_add_co_ci_u32_e64 v5, null, s17, v2, vcc_lo
	v_add_co_u32 v7, vcc_lo, s22, v1
	v_add_co_ci_u32_e64 v8, null, s23, v2, vcc_lo
	global_load_dwordx2 v[5:6], v[4:5], off
	global_load_dword v4, v[7:8], off
	s_waitcnt vmcnt(1) lgkmcnt(0)
	v_subrev_nc_u32_e32 v5, s2, v5
	v_subrev_nc_u32_e32 v8, s2, v6
	v_add_nc_u32_e32 v6, v5, v15
	v_cmpx_lt_i32_e64 v6, v8
	s_cbranch_execz .LBB29_13
; %bb.4:
	v_mov_b32_e32 v9, -1
	s_mov_b32 s1, 0
	s_branch .LBB29_6
.LBB29_5:                               ;   in Loop: Header=BB29_6 Depth=1
	s_or_b32 exec_lo, exec_lo, s3
	v_add_nc_u32_e32 v6, 32, v6
	v_cmp_ge_i32_e32 vcc_lo, v6, v8
	s_or_b32 s1, vcc_lo, s1
	s_andn2_b32 exec_lo, exec_lo, s1
	s_cbranch_execz .LBB29_13
.LBB29_6:                               ; =>This Loop Header: Depth=1
                                        ;     Child Loop BB29_9 Depth 2
	v_ashrrev_i32_e32 v7, 31, v6
	s_mov_b32 s3, exec_lo
	v_lshlrev_b64 v[10:11], 2, v[6:7]
	v_add_co_u32 v10, vcc_lo, s18, v10
	v_add_co_ci_u32_e64 v11, null, s19, v11, vcc_lo
	global_load_dword v7, v[10:11], off
	s_waitcnt vmcnt(0)
	v_mul_lo_u32 v10, 0x67, v7
	v_and_b32_e32 v10, 0x7f, v10
	v_lshl_add_u32 v11, v10, 2, v16
	ds_read_b32 v12, v11
	s_waitcnt lgkmcnt(0)
	v_cmpx_ne_u32_e64 v12, v7
	s_cbranch_execz .LBB29_5
; %bb.7:                                ;   in Loop: Header=BB29_6 Depth=1
	s_mov_b32 s6, 0
                                        ; implicit-def: $sgpr7
                                        ; implicit-def: $sgpr11
                                        ; implicit-def: $sgpr10
	s_inst_prefetch 0x1
	s_branch .LBB29_9
	.p2align	6
.LBB29_8:                               ;   in Loop: Header=BB29_9 Depth=2
	s_or_b32 exec_lo, exec_lo, s24
	s_and_b32 s24, exec_lo, s11
	s_or_b32 s6, s24, s6
	s_andn2_b32 s7, s7, exec_lo
	s_and_b32 s24, s10, exec_lo
	s_or_b32 s7, s7, s24
	s_andn2_b32 exec_lo, exec_lo, s6
	s_cbranch_execz .LBB29_11
.LBB29_9:                               ;   Parent Loop BB29_6 Depth=1
                                        ; =>  This Inner Loop Header: Depth=2
	ds_cmpst_rtn_b32 v11, v11, v9, v7
	v_mov_b32_e32 v12, v10
	s_or_b32 s10, s10, exec_lo
	s_or_b32 s11, s11, exec_lo
                                        ; implicit-def: $vgpr10
	s_waitcnt lgkmcnt(0)
	v_cmp_ne_u32_e32 vcc_lo, -1, v11
                                        ; implicit-def: $vgpr11
	s_and_saveexec_b32 s24, vcc_lo
	s_cbranch_execz .LBB29_8
; %bb.10:                               ;   in Loop: Header=BB29_9 Depth=2
	v_add_nc_u32_e32 v10, 1, v12
	s_andn2_b32 s11, s11, exec_lo
	s_andn2_b32 s10, s10, exec_lo
	v_and_b32_e32 v10, 0x7f, v10
	v_lshl_add_u32 v11, v10, 2, v16
	ds_read_b32 v13, v11
	s_waitcnt lgkmcnt(0)
	v_cmp_eq_u32_e32 vcc_lo, v13, v7
	s_and_b32 s25, vcc_lo, exec_lo
	s_or_b32 s11, s11, s25
	s_branch .LBB29_8
.LBB29_11:                              ;   in Loop: Header=BB29_6 Depth=1
	s_inst_prefetch 0x2
	s_or_b32 exec_lo, exec_lo, s6
	s_and_saveexec_b32 s6, s7
	s_xor_b32 s6, exec_lo, s6
	s_cbranch_execz .LBB29_5
; %bb.12:                               ;   in Loop: Header=BB29_6 Depth=1
	v_lshl_add_u32 v7, v12, 2, v0
	ds_write_b32 v7, v6
	s_branch .LBB29_5
.LBB29_13:
	s_or_b32 exec_lo, exec_lo, s0
	v_mov_b32_e32 v17, 0
	v_mov_b32_e32 v18, 0
	s_mov_b32 s3, exec_lo
	s_waitcnt vmcnt(0) lgkmcnt(0)
	buffer_gl0_inv
	v_cmpx_lt_i32_e64 v5, v4
	s_cbranch_execz .LBB29_35
; %bb.14:
	v_mbcnt_lo_u32_b32 v19, -1, 0
	v_add_nc_u32_e32 v20, -1, v4
	v_subrev_nc_u32_e32 v21, s2, v15
	v_cmp_eq_u32_e64 s0, 31, v15
	v_mov_b32_e32 v17, 0
	v_xor_b32_e32 v22, 16, v19
	v_xor_b32_e32 v23, 8, v19
	;; [unrolled: 1-line block ×5, first 2 shown]
	v_mov_b32_e32 v18, 0
	s_mov_b32 s6, 0
	s_branch .LBB29_17
.LBB29_15:                              ;   in Loop: Header=BB29_17 Depth=1
	s_or_b32 exec_lo, exec_lo, s7
	v_add_nc_u32_e32 v5, 1, v5
	v_cmp_ge_i32_e32 vcc_lo, v5, v4
	s_orn2_b32 s7, vcc_lo, exec_lo
.LBB29_16:                              ;   in Loop: Header=BB29_17 Depth=1
	s_or_b32 exec_lo, exec_lo, s1
	s_and_b32 s1, exec_lo, s7
	s_or_b32 s6, s1, s6
	s_andn2_b32 exec_lo, exec_lo, s6
	s_cbranch_execz .LBB29_34
.LBB29_17:                              ; =>This Loop Header: Depth=1
                                        ;     Child Loop BB29_18 Depth 2
                                        ;     Child Loop BB29_24 Depth 2
                                        ;       Child Loop BB29_27 Depth 3
	v_ashrrev_i32_e32 v6, 31, v5
	s_mov_b32 s1, 0
	v_lshlrev_b64 v[7:8], 2, v[5:6]
	v_lshlrev_b64 v[9:10], 3, v[5:6]
	v_add_co_u32 v7, vcc_lo, s18, v7
	v_add_co_ci_u32_e64 v8, null, s19, v8, vcc_lo
	v_add_co_u32 v6, vcc_lo, s20, v9
	global_load_dword v7, v[7:8], off
	s_waitcnt vmcnt(0)
	v_subrev_nc_u32_e32 v7, s2, v7
	v_ashrrev_i32_e32 v8, 31, v7
	s_waitcnt lgkmcnt(0)
	v_lshlrev_b64 v[27:28], 2, v[7:8]
	v_add_co_ci_u32_e64 v7, null, s21, v10, vcc_lo
	v_add_co_u32 v10, vcc_lo, s16, v27
	v_add_co_ci_u32_e64 v11, null, s17, v28, vcc_lo
	v_add_co_u32 v12, vcc_lo, s22, v27
	v_add_co_ci_u32_e64 v13, null, s23, v28, vcc_lo
	global_load_dwordx2 v[8:9], v[6:7], off
	global_load_dword v14, v[10:11], off
	global_load_dword v12, v[12:13], off
	v_add_co_u32 v10, vcc_lo, s8, v27
	v_add_co_ci_u32_e64 v11, null, s9, v28, vcc_lo
.LBB29_18:                              ;   Parent Loop BB29_17 Depth=1
                                        ; =>  This Inner Loop Header: Depth=2
	global_load_dword v13, v[10:11], off glc dlc
	s_waitcnt vmcnt(0)
	v_cmp_ne_u32_e32 vcc_lo, 0, v13
	s_or_b32 s1, vcc_lo, s1
	s_andn2_b32 exec_lo, exec_lo, s1
	s_cbranch_execnz .LBB29_18
; %bb.19:                               ;   in Loop: Header=BB29_17 Depth=1
	s_or_b32 exec_lo, exec_lo, s1
	v_cmp_eq_u32_e32 vcc_lo, -1, v12
	buffer_gl1_inv
	buffer_gl0_inv
	s_mov_b32 s7, -1
	v_cndmask_b32_e32 v12, v12, v20, vcc_lo
	v_ashrrev_i32_e32 v13, 31, v12
	v_lshlrev_b64 v[10:11], 3, v[12:13]
	v_add_co_u32 v10, vcc_lo, s20, v10
	v_add_co_ci_u32_e64 v11, null, s21, v11, vcc_lo
	global_load_dwordx2 v[10:11], v[10:11], off
	s_waitcnt vmcnt(0)
	v_cmp_neq_f32_e32 vcc_lo, 0, v10
	v_cmp_neq_f32_e64 s1, 0, v11
	s_or_b32 s10, vcc_lo, s1
	s_and_saveexec_b32 s1, s10
	s_cbranch_execz .LBB29_16
; %bb.20:                               ;   in Loop: Header=BB29_17 Depth=1
	v_add_nc_u32_e32 v13, v21, v14
	v_mov_b32_e32 v27, 0
	v_mov_b32_e32 v28, 0
	s_mov_b32 s7, exec_lo
	v_cmpx_lt_i32_e64 v13, v12
	s_cbranch_execz .LBB29_32
; %bb.21:                               ;   in Loop: Header=BB29_17 Depth=1
	v_mov_b32_e32 v27, 0
	v_mov_b32_e32 v28, 0
	s_mov_b32 s10, 0
	s_branch .LBB29_24
.LBB29_22:                              ;   in Loop: Header=BB29_24 Depth=2
	s_or_b32 exec_lo, exec_lo, s24
.LBB29_23:                              ;   in Loop: Header=BB29_24 Depth=2
	s_or_b32 exec_lo, exec_lo, s11
	v_add_nc_u32_e32 v13, 32, v13
	v_cmp_ge_i32_e32 vcc_lo, v13, v12
	s_or_b32 s10, vcc_lo, s10
	s_andn2_b32 exec_lo, exec_lo, s10
	s_cbranch_execz .LBB29_31
.LBB29_24:                              ;   Parent Loop BB29_17 Depth=1
                                        ; =>  This Loop Header: Depth=2
                                        ;       Child Loop BB29_27 Depth 3
	v_ashrrev_i32_e32 v14, 31, v13
	s_mov_b32 s11, exec_lo
	v_lshlrev_b64 v[29:30], 2, v[13:14]
	v_add_co_u32 v29, vcc_lo, s18, v29
	v_add_co_ci_u32_e64 v30, null, s19, v30, vcc_lo
	global_load_dword v29, v[29:30], off
	s_waitcnt vmcnt(0)
	v_mul_lo_u32 v30, 0x67, v29
	v_and_b32_e32 v32, 0x7f, v30
	v_lshl_add_u32 v30, v32, 2, v16
	ds_read_b32 v31, v30
	s_waitcnt lgkmcnt(0)
	v_cmpx_ne_u32_e32 -1, v31
	s_cbranch_execz .LBB29_23
; %bb.25:                               ;   in Loop: Header=BB29_24 Depth=2
	s_mov_b32 s25, 0
                                        ; implicit-def: $sgpr24
                                        ; implicit-def: $sgpr27
                                        ; implicit-def: $sgpr26
	s_inst_prefetch 0x1
	s_branch .LBB29_27
	.p2align	6
.LBB29_26:                              ;   in Loop: Header=BB29_27 Depth=3
	s_or_b32 exec_lo, exec_lo, s28
	s_and_b32 s28, exec_lo, s27
	s_or_b32 s25, s28, s25
	s_andn2_b32 s24, s24, exec_lo
	s_and_b32 s28, s26, exec_lo
	s_or_b32 s24, s24, s28
	s_andn2_b32 exec_lo, exec_lo, s25
	s_cbranch_execz .LBB29_29
.LBB29_27:                              ;   Parent Loop BB29_17 Depth=1
                                        ;     Parent Loop BB29_24 Depth=2
                                        ; =>    This Inner Loop Header: Depth=3
	v_mov_b32_e32 v30, v32
	v_cmp_ne_u32_e32 vcc_lo, v31, v29
	s_or_b32 s26, s26, exec_lo
	s_or_b32 s27, s27, exec_lo
                                        ; implicit-def: $vgpr32
                                        ; implicit-def: $vgpr31
	s_and_saveexec_b32 s28, vcc_lo
	s_cbranch_execz .LBB29_26
; %bb.28:                               ;   in Loop: Header=BB29_27 Depth=3
	v_add_nc_u32_e32 v31, 1, v30
	s_andn2_b32 s27, s27, exec_lo
	s_andn2_b32 s26, s26, exec_lo
	v_and_b32_e32 v32, 0x7f, v31
	v_lshl_add_u32 v31, v32, 2, v16
	ds_read_b32 v31, v31
	s_waitcnt lgkmcnt(0)
	v_cmp_eq_u32_e32 vcc_lo, -1, v31
	s_and_b32 s29, vcc_lo, exec_lo
	s_or_b32 s27, s27, s29
	s_branch .LBB29_26
.LBB29_29:                              ;   in Loop: Header=BB29_24 Depth=2
	s_inst_prefetch 0x2
	s_or_b32 exec_lo, exec_lo, s25
	s_and_saveexec_b32 s25, s24
	s_xor_b32 s24, exec_lo, s25
	s_cbranch_execz .LBB29_22
; %bb.30:                               ;   in Loop: Header=BB29_24 Depth=2
	v_lshl_add_u32 v29, v30, 2, v0
	v_lshlrev_b64 v[31:32], 3, v[13:14]
	ds_read_b32 v29, v29
	v_add_co_u32 v31, vcc_lo, s20, v31
	v_add_co_ci_u32_e64 v32, null, s21, v32, vcc_lo
	s_waitcnt lgkmcnt(0)
	v_ashrrev_i32_e32 v30, 31, v29
	v_lshlrev_b64 v[29:30], 3, v[29:30]
	v_add_co_u32 v29, vcc_lo, s20, v29
	v_add_co_ci_u32_e64 v30, null, s21, v30, vcc_lo
	s_clause 0x1
	global_load_dwordx2 v[31:32], v[31:32], off
	global_load_dwordx2 v[29:30], v[29:30], off
	s_waitcnt vmcnt(0)
	v_fmac_f32_e32 v28, v31, v29
	v_fmac_f32_e32 v27, v32, v29
	v_fmac_f32_e32 v28, v32, v30
	v_fma_f32 v27, v31, -v30, v27
	s_branch .LBB29_22
.LBB29_31:                              ;   in Loop: Header=BB29_17 Depth=1
	s_or_b32 exec_lo, exec_lo, s10
.LBB29_32:                              ;   in Loop: Header=BB29_17 Depth=1
	s_or_b32 exec_lo, exec_lo, s7
	v_cmp_gt_i32_e32 vcc_lo, 32, v22
	v_cndmask_b32_e32 v12, v19, v22, vcc_lo
	v_cmp_gt_i32_e32 vcc_lo, 32, v23
	v_lshlrev_b32_e32 v12, 2, v12
	v_cndmask_b32_e32 v14, v19, v23, vcc_lo
	v_cmp_gt_i32_e32 vcc_lo, 32, v24
	ds_bpermute_b32 v13, v12, v28
	ds_bpermute_b32 v12, v12, v27
	v_lshlrev_b32_e32 v14, 2, v14
	s_waitcnt lgkmcnt(1)
	v_add_f32_e32 v13, v28, v13
	s_waitcnt lgkmcnt(0)
	v_add_f32_e32 v12, v27, v12
	v_cndmask_b32_e32 v28, v19, v24, vcc_lo
	v_cmp_gt_i32_e32 vcc_lo, 32, v25
	ds_bpermute_b32 v27, v14, v13
	ds_bpermute_b32 v14, v14, v12
	v_lshlrev_b32_e32 v28, 2, v28
	s_waitcnt lgkmcnt(1)
	v_add_f32_e32 v13, v13, v27
	s_waitcnt lgkmcnt(0)
	v_add_f32_e32 v12, v12, v14
	ds_bpermute_b32 v14, v28, v13
	ds_bpermute_b32 v27, v28, v12
	v_cndmask_b32_e32 v28, v19, v25, vcc_lo
	v_cmp_gt_i32_e32 vcc_lo, 32, v26
	v_lshlrev_b32_e32 v28, 2, v28
	s_waitcnt lgkmcnt(1)
	v_add_f32_e32 v13, v13, v14
	s_waitcnt lgkmcnt(0)
	v_add_f32_e32 v14, v12, v27
	ds_bpermute_b32 v12, v28, v13
	ds_bpermute_b32 v27, v28, v14
	v_cndmask_b32_e32 v28, v19, v26, vcc_lo
	v_lshlrev_b32_e32 v28, 2, v28
	s_waitcnt lgkmcnt(1)
	v_add_f32_e32 v12, v13, v12
	s_waitcnt lgkmcnt(0)
	v_add_f32_e32 v14, v14, v27
	ds_bpermute_b32 v13, v28, v12
	ds_bpermute_b32 v27, v28, v14
	s_and_saveexec_b32 s7, s0
	s_cbranch_execz .LBB29_15
; %bb.33:                               ;   in Loop: Header=BB29_17 Depth=1
	v_mul_f32_e32 v28, v11, v11
	s_waitcnt lgkmcnt(0)
	v_add_f32_e32 v14, v14, v27
	v_add_f32_e32 v12, v12, v13
	v_fmac_f32_e32 v28, v10, v10
	v_sub_f32_e32 v12, v8, v12
	v_div_scale_f32 v29, null, v28, v28, 1.0
	v_div_scale_f32 v32, vcc_lo, 1.0, v28, 1.0
	v_rcp_f32_e32 v30, v29
	v_fma_f32 v31, -v29, v30, 1.0
	v_fmac_f32_e32 v30, v31, v30
	v_mul_f32_e32 v31, v32, v30
	v_fma_f32 v33, -v29, v31, v32
	v_fmac_f32_e32 v31, v33, v30
	v_fma_f32 v29, -v29, v31, v32
	v_div_fmas_f32 v29, v29, v30, v31
	v_fma_f32 v30, v10, 0, -v11
	v_fma_f32 v10, 0, v11, v10
	v_sub_f32_e32 v11, v9, v14
	v_div_fixup_f32 v27, v29, v28, 1.0
	v_mul_f32_e32 v9, v30, v27
	v_mul_f32_e32 v10, v10, v27
	v_mul_f32_e64 v8, v9, -v11
	v_mul_f32_e32 v9, v9, v12
	v_fmac_f32_e32 v8, v12, v10
	v_fmac_f32_e32 v9, v11, v10
	;; [unrolled: 1-line block ×4, first 2 shown]
	global_store_dwordx2 v[6:7], v[8:9], off
	v_fmac_f32_e32 v18, v9, v9
	v_fma_f32 v17, v8, -v9, v17
	s_branch .LBB29_15
.LBB29_34:
	s_or_b32 exec_lo, exec_lo, s6
.LBB29_35:
	s_or_b32 exec_lo, exec_lo, s3
	v_cmp_eq_u32_e64 s0, 31, v15
	v_cmp_lt_i32_e32 vcc_lo, -1, v4
	s_and_b32 s1, s0, vcc_lo
	s_and_saveexec_b32 s3, s1
	s_cbranch_execz .LBB29_52
; %bb.36:
	v_mov_b32_e32 v5, 0
	s_load_dwordx2 s[4:5], s[4:5], 0x48
	v_add_nc_u32_e32 v0, s2, v3
	v_lshlrev_b64 v[4:5], 3, v[4:5]
	v_add_co_u32 v4, vcc_lo, s20, v4
	v_add_co_ci_u32_e64 v5, null, s21, v5, vcc_lo
	global_load_dwordx2 v[6:7], v[4:5], off
	s_waitcnt lgkmcnt(0)
	v_mul_f64 v[8:9], s[4:5], s[4:5]
	s_waitcnt vmcnt(0)
	v_sub_f32_e32 v6, v6, v18
	v_sub_f32_e32 v7, v7, v17
	v_cvt_f64_f32_e32 v[10:11], v6
	v_cmp_eq_f32_e64 s1, 0, v7
	v_cmp_ge_f64_e32 vcc_lo, v[8:9], v[10:11]
	s_and_b32 s2, vcc_lo, s1
	s_and_saveexec_b32 s1, s2
	s_cbranch_execz .LBB29_41
; %bb.37:
	s_mov_b32 s4, exec_lo
	s_brev_b32 s2, -2
.LBB29_38:                              ; =>This Inner Loop Header: Depth=1
	s_ff1_i32_b32 s5, s4
	v_readlane_b32 s6, v0, s5
	s_lshl_b32 s5, 1, s5
	s_andn2_b32 s4, s4, s5
	s_min_i32 s2, s2, s6
	s_cmp_lg_u32 s4, 0
	s_cbranch_scc1 .LBB29_38
; %bb.39:
	v_mbcnt_lo_u32_b32 v3, exec_lo, 0
	s_mov_b32 s4, exec_lo
	v_cmpx_eq_u32_e32 0, v3
	s_xor_b32 s4, exec_lo, s4
	s_cbranch_execz .LBB29_41
; %bb.40:
	v_mov_b32_e32 v3, 0
	v_mov_b32_e32 v8, s2
	global_atomic_smin v3, v8, s[14:15]
.LBB29_41:
	s_or_b32 exec_lo, exec_lo, s1
	v_cmp_gt_f32_e32 vcc_lo, 0, v6
                                        ; implicit-def: $vgpr8
	s_mov_b32 s1, exec_lo
	v_cndmask_b32_e64 v3, v6, -v6, vcc_lo
	v_cmp_gt_f32_e32 vcc_lo, 0, v7
	v_cndmask_b32_e64 v6, v7, -v7, vcc_lo
	v_cmpx_ngt_f32_e32 v3, v6
	s_xor_b32 s2, exec_lo, s1
	s_cbranch_execz .LBB29_45
; %bb.42:
	v_mov_b32_e32 v8, 0
	s_mov_b32 s4, exec_lo
	v_cmpx_neq_f32_e32 0, v7
	s_cbranch_execz .LBB29_44
; %bb.43:
	v_div_scale_f32 v7, null, v6, v6, v3
	v_div_scale_f32 v10, vcc_lo, v3, v6, v3
	v_rcp_f32_e32 v8, v7
	v_fma_f32 v9, -v7, v8, 1.0
	v_fmac_f32_e32 v8, v9, v8
	v_mul_f32_e32 v9, v10, v8
	v_fma_f32 v11, -v7, v9, v10
	v_fmac_f32_e32 v9, v11, v8
	v_fma_f32 v7, -v7, v9, v10
	v_div_fmas_f32 v7, v7, v8, v9
	v_div_fixup_f32 v3, v7, v6, v3
	v_fma_f32 v3, v3, v3, 1.0
	v_mul_f32_e32 v7, 0x4f800000, v3
	v_cmp_gt_f32_e32 vcc_lo, 0xf800000, v3
	v_cndmask_b32_e32 v3, v3, v7, vcc_lo
	v_sqrt_f32_e32 v7, v3
	v_add_nc_u32_e32 v8, -1, v7
	v_add_nc_u32_e32 v9, 1, v7
	v_fma_f32 v10, -v8, v7, v3
	v_fma_f32 v11, -v9, v7, v3
	v_cmp_ge_f32_e64 s1, 0, v10
	v_cndmask_b32_e64 v7, v7, v8, s1
	v_cmp_lt_f32_e64 s1, 0, v11
	v_cndmask_b32_e64 v7, v7, v9, s1
	v_mul_f32_e32 v8, 0x37800000, v7
	v_cndmask_b32_e32 v7, v7, v8, vcc_lo
	v_cmp_class_f32_e64 vcc_lo, v3, 0x260
	v_cndmask_b32_e32 v3, v7, v3, vcc_lo
	v_mul_f32_e32 v8, v6, v3
.LBB29_44:
	s_or_b32 exec_lo, exec_lo, s4
                                        ; implicit-def: $vgpr3
                                        ; implicit-def: $vgpr6
.LBB29_45:
	s_andn2_saveexec_b32 s2, s2
	s_cbranch_execz .LBB29_47
; %bb.46:
	v_div_scale_f32 v7, null, v3, v3, v6
	v_div_scale_f32 v10, vcc_lo, v6, v3, v6
	v_rcp_f32_e32 v8, v7
	v_fma_f32 v9, -v7, v8, 1.0
	v_fmac_f32_e32 v8, v9, v8
	v_mul_f32_e32 v9, v10, v8
	v_fma_f32 v11, -v7, v9, v10
	v_fmac_f32_e32 v9, v11, v8
	v_fma_f32 v7, -v7, v9, v10
	v_div_fmas_f32 v7, v7, v8, v9
	v_div_fixup_f32 v6, v7, v3, v6
	v_fma_f32 v6, v6, v6, 1.0
	v_mul_f32_e32 v7, 0x4f800000, v6
	v_cmp_gt_f32_e32 vcc_lo, 0xf800000, v6
	v_cndmask_b32_e32 v6, v6, v7, vcc_lo
	v_sqrt_f32_e32 v7, v6
	v_add_nc_u32_e32 v8, -1, v7
	v_add_nc_u32_e32 v9, 1, v7
	v_fma_f32 v10, -v8, v7, v6
	v_fma_f32 v11, -v9, v7, v6
	v_cmp_ge_f32_e64 s1, 0, v10
	v_cndmask_b32_e64 v7, v7, v8, s1
	v_cmp_lt_f32_e64 s1, 0, v11
	v_cndmask_b32_e64 v7, v7, v9, s1
	v_mul_f32_e32 v8, 0x37800000, v7
	v_cndmask_b32_e32 v7, v7, v8, vcc_lo
	v_cmp_class_f32_e64 vcc_lo, v6, 0x260
	v_cndmask_b32_e32 v6, v7, v6, vcc_lo
	v_mul_f32_e32 v8, v3, v6
.LBB29_47:
	s_or_b32 exec_lo, exec_lo, s2
	v_mul_f32_e32 v3, 0x4f800000, v8
	v_cmp_gt_f32_e32 vcc_lo, 0xf800000, v8
	v_cndmask_b32_e32 v3, v8, v3, vcc_lo
	v_sqrt_f32_e32 v6, v3
	v_add_nc_u32_e32 v7, -1, v6
	v_add_nc_u32_e32 v9, 1, v6
	v_fma_f32 v10, -v7, v6, v3
	v_fma_f32 v11, -v9, v6, v3
	v_cmp_ge_f32_e64 s1, 0, v10
	v_cndmask_b32_e64 v6, v6, v7, s1
	v_cmp_lt_f32_e64 s1, 0, v11
	v_cndmask_b32_e64 v6, v6, v9, s1
	v_mul_f32_e32 v7, 0x37800000, v6
	v_cndmask_b32_e32 v6, v6, v7, vcc_lo
	v_cmp_class_f32_e64 vcc_lo, v3, 0x260
	v_mov_b32_e32 v7, 0
	v_cndmask_b32_e32 v6, v6, v3, vcc_lo
	v_cmp_eq_f32_e32 vcc_lo, 0, v8
	global_store_dwordx2 v[4:5], v[6:7], off
	s_and_b32 exec_lo, exec_lo, vcc_lo
	s_cbranch_execz .LBB29_52
; %bb.48:
	s_mov_b32 s2, exec_lo
	s_brev_b32 s1, -2
.LBB29_49:                              ; =>This Inner Loop Header: Depth=1
	s_ff1_i32_b32 s4, s2
	v_readlane_b32 s5, v0, s4
	s_lshl_b32 s4, 1, s4
	s_andn2_b32 s2, s2, s4
	s_min_i32 s1, s1, s5
	s_cmp_lg_u32 s2, 0
	s_cbranch_scc1 .LBB29_49
; %bb.50:
	v_mbcnt_lo_u32_b32 v0, exec_lo, 0
	s_mov_b32 s2, exec_lo
	v_cmpx_eq_u32_e32 0, v0
	s_xor_b32 s2, exec_lo, s2
	s_cbranch_execz .LBB29_52
; %bb.51:
	v_mov_b32_e32 v0, 0
	v_mov_b32_e32 v3, s1
	global_atomic_smin v0, v3, s[12:13]
.LBB29_52:
	s_or_b32 exec_lo, exec_lo, s3
	s_and_b32 exec_lo, exec_lo, s0
	s_cbranch_execz .LBB29_54
; %bb.53:
	v_add_co_u32 v0, vcc_lo, s8, v1
	v_add_co_ci_u32_e64 v1, null, s9, v2, vcc_lo
	v_mov_b32_e32 v2, 1
	s_waitcnt lgkmcnt(0)
	s_waitcnt_vscnt null, 0x0
	global_store_dword v[0:1], v2, off
.LBB29_54:
	s_endpgm
	.section	.rodata,"a",@progbits
	.p2align	6, 0x0
	.amdhsa_kernel _ZN9rocsparseL18csric0_hash_kernelILj256ELj32ELj4E21rocsparse_complex_numIfEEEviPKiS4_PT2_S4_PiS4_S7_S7_d21rocsparse_index_base_
		.amdhsa_group_segment_fixed_size 8192
		.amdhsa_private_segment_fixed_size 0
		.amdhsa_kernarg_size 84
		.amdhsa_user_sgpr_count 6
		.amdhsa_user_sgpr_private_segment_buffer 1
		.amdhsa_user_sgpr_dispatch_ptr 0
		.amdhsa_user_sgpr_queue_ptr 0
		.amdhsa_user_sgpr_kernarg_segment_ptr 1
		.amdhsa_user_sgpr_dispatch_id 0
		.amdhsa_user_sgpr_flat_scratch_init 0
		.amdhsa_user_sgpr_private_segment_size 0
		.amdhsa_wavefront_size32 1
		.amdhsa_uses_dynamic_stack 0
		.amdhsa_system_sgpr_private_segment_wavefront_offset 0
		.amdhsa_system_sgpr_workgroup_id_x 1
		.amdhsa_system_sgpr_workgroup_id_y 0
		.amdhsa_system_sgpr_workgroup_id_z 0
		.amdhsa_system_sgpr_workgroup_info 0
		.amdhsa_system_vgpr_workitem_id 0
		.amdhsa_next_free_vgpr 34
		.amdhsa_next_free_sgpr 30
		.amdhsa_reserve_vcc 1
		.amdhsa_reserve_flat_scratch 0
		.amdhsa_float_round_mode_32 0
		.amdhsa_float_round_mode_16_64 0
		.amdhsa_float_denorm_mode_32 3
		.amdhsa_float_denorm_mode_16_64 3
		.amdhsa_dx10_clamp 1
		.amdhsa_ieee_mode 1
		.amdhsa_fp16_overflow 0
		.amdhsa_workgroup_processor_mode 1
		.amdhsa_memory_ordered 1
		.amdhsa_forward_progress 1
		.amdhsa_shared_vgpr_count 0
		.amdhsa_exception_fp_ieee_invalid_op 0
		.amdhsa_exception_fp_denorm_src 0
		.amdhsa_exception_fp_ieee_div_zero 0
		.amdhsa_exception_fp_ieee_overflow 0
		.amdhsa_exception_fp_ieee_underflow 0
		.amdhsa_exception_fp_ieee_inexact 0
		.amdhsa_exception_int_div_zero 0
	.end_amdhsa_kernel
	.section	.text._ZN9rocsparseL18csric0_hash_kernelILj256ELj32ELj4E21rocsparse_complex_numIfEEEviPKiS4_PT2_S4_PiS4_S7_S7_d21rocsparse_index_base_,"axG",@progbits,_ZN9rocsparseL18csric0_hash_kernelILj256ELj32ELj4E21rocsparse_complex_numIfEEEviPKiS4_PT2_S4_PiS4_S7_S7_d21rocsparse_index_base_,comdat
.Lfunc_end29:
	.size	_ZN9rocsparseL18csric0_hash_kernelILj256ELj32ELj4E21rocsparse_complex_numIfEEEviPKiS4_PT2_S4_PiS4_S7_S7_d21rocsparse_index_base_, .Lfunc_end29-_ZN9rocsparseL18csric0_hash_kernelILj256ELj32ELj4E21rocsparse_complex_numIfEEEviPKiS4_PT2_S4_PiS4_S7_S7_d21rocsparse_index_base_
                                        ; -- End function
	.set _ZN9rocsparseL18csric0_hash_kernelILj256ELj32ELj4E21rocsparse_complex_numIfEEEviPKiS4_PT2_S4_PiS4_S7_S7_d21rocsparse_index_base_.num_vgpr, 34
	.set _ZN9rocsparseL18csric0_hash_kernelILj256ELj32ELj4E21rocsparse_complex_numIfEEEviPKiS4_PT2_S4_PiS4_S7_S7_d21rocsparse_index_base_.num_agpr, 0
	.set _ZN9rocsparseL18csric0_hash_kernelILj256ELj32ELj4E21rocsparse_complex_numIfEEEviPKiS4_PT2_S4_PiS4_S7_S7_d21rocsparse_index_base_.numbered_sgpr, 30
	.set _ZN9rocsparseL18csric0_hash_kernelILj256ELj32ELj4E21rocsparse_complex_numIfEEEviPKiS4_PT2_S4_PiS4_S7_S7_d21rocsparse_index_base_.num_named_barrier, 0
	.set _ZN9rocsparseL18csric0_hash_kernelILj256ELj32ELj4E21rocsparse_complex_numIfEEEviPKiS4_PT2_S4_PiS4_S7_S7_d21rocsparse_index_base_.private_seg_size, 0
	.set _ZN9rocsparseL18csric0_hash_kernelILj256ELj32ELj4E21rocsparse_complex_numIfEEEviPKiS4_PT2_S4_PiS4_S7_S7_d21rocsparse_index_base_.uses_vcc, 1
	.set _ZN9rocsparseL18csric0_hash_kernelILj256ELj32ELj4E21rocsparse_complex_numIfEEEviPKiS4_PT2_S4_PiS4_S7_S7_d21rocsparse_index_base_.uses_flat_scratch, 0
	.set _ZN9rocsparseL18csric0_hash_kernelILj256ELj32ELj4E21rocsparse_complex_numIfEEEviPKiS4_PT2_S4_PiS4_S7_S7_d21rocsparse_index_base_.has_dyn_sized_stack, 0
	.set _ZN9rocsparseL18csric0_hash_kernelILj256ELj32ELj4E21rocsparse_complex_numIfEEEviPKiS4_PT2_S4_PiS4_S7_S7_d21rocsparse_index_base_.has_recursion, 0
	.set _ZN9rocsparseL18csric0_hash_kernelILj256ELj32ELj4E21rocsparse_complex_numIfEEEviPKiS4_PT2_S4_PiS4_S7_S7_d21rocsparse_index_base_.has_indirect_call, 0
	.section	.AMDGPU.csdata,"",@progbits
; Kernel info:
; codeLenInByte = 2800
; TotalNumSgprs: 32
; NumVgprs: 34
; ScratchSize: 0
; MemoryBound: 0
; FloatMode: 240
; IeeeMode: 1
; LDSByteSize: 8192 bytes/workgroup (compile time only)
; SGPRBlocks: 0
; VGPRBlocks: 4
; NumSGPRsForWavesPerEU: 32
; NumVGPRsForWavesPerEU: 34
; Occupancy: 16
; WaveLimiterHint : 1
; COMPUTE_PGM_RSRC2:SCRATCH_EN: 0
; COMPUTE_PGM_RSRC2:USER_SGPR: 6
; COMPUTE_PGM_RSRC2:TRAP_HANDLER: 0
; COMPUTE_PGM_RSRC2:TGID_X_EN: 1
; COMPUTE_PGM_RSRC2:TGID_Y_EN: 0
; COMPUTE_PGM_RSRC2:TGID_Z_EN: 0
; COMPUTE_PGM_RSRC2:TIDIG_COMP_CNT: 0
	.section	.text._ZN9rocsparseL18csric0_hash_kernelILj256ELj32ELj8E21rocsparse_complex_numIfEEEviPKiS4_PT2_S4_PiS4_S7_S7_d21rocsparse_index_base_,"axG",@progbits,_ZN9rocsparseL18csric0_hash_kernelILj256ELj32ELj8E21rocsparse_complex_numIfEEEviPKiS4_PT2_S4_PiS4_S7_S7_d21rocsparse_index_base_,comdat
	.globl	_ZN9rocsparseL18csric0_hash_kernelILj256ELj32ELj8E21rocsparse_complex_numIfEEEviPKiS4_PT2_S4_PiS4_S7_S7_d21rocsparse_index_base_ ; -- Begin function _ZN9rocsparseL18csric0_hash_kernelILj256ELj32ELj8E21rocsparse_complex_numIfEEEviPKiS4_PT2_S4_PiS4_S7_S7_d21rocsparse_index_base_
	.p2align	8
	.type	_ZN9rocsparseL18csric0_hash_kernelILj256ELj32ELj8E21rocsparse_complex_numIfEEEviPKiS4_PT2_S4_PiS4_S7_S7_d21rocsparse_index_base_,@function
_ZN9rocsparseL18csric0_hash_kernelILj256ELj32ELj8E21rocsparse_complex_numIfEEEviPKiS4_PT2_S4_PiS4_S7_S7_d21rocsparse_index_base_: ; @_ZN9rocsparseL18csric0_hash_kernelILj256ELj32ELj8E21rocsparse_complex_numIfEEEviPKiS4_PT2_S4_PiS4_S7_S7_d21rocsparse_index_base_
; %bb.0:
	s_clause 0x1
	s_load_dwordx8 s[16:23], s[4:5], 0x8
	s_load_dwordx8 s[8:15], s[4:5], 0x28
	v_lshrrev_b32_e32 v1, 5, v0
	v_and_b32_e32 v15, 31, v0
	s_mov_b32 s0, 0
	v_lshlrev_b32_e32 v3, 10, v1
	v_lshlrev_b32_e32 v4, 2, v15
	v_or_b32_e32 v2, 0xffffffe0, v15
	v_or3_b32 v3, v3, v4, 0x2000
	v_mov_b32_e32 v4, -1
.LBB30_1:                               ; =>This Inner Loop Header: Depth=1
	v_add_nc_u32_e32 v2, 32, v2
	ds_write_b32 v3, v4
	v_add_nc_u32_e32 v3, 0x80, v3
	v_cmp_lt_u32_e32 vcc_lo, 0xdf, v2
	s_or_b32 s0, vcc_lo, s0
	s_andn2_b32 exec_lo, exec_lo, s0
	s_cbranch_execnz .LBB30_1
; %bb.2:
	s_or_b32 exec_lo, exec_lo, s0
	s_load_dword s0, s[4:5], 0x0
	s_lshl_b32 s1, s6, 3
	s_waitcnt lgkmcnt(0)
	buffer_gl0_inv
	v_and_or_b32 v1, 0x7fffff8, s1, v1
	v_cmp_gt_i32_e32 vcc_lo, s0, v1
	s_and_saveexec_b32 s0, vcc_lo
	s_cbranch_execz .LBB30_54
; %bb.3:
	v_lshlrev_b32_e32 v1, 2, v1
	s_load_dword s2, s[4:5], 0x50
	v_lshlrev_b32_e32 v0, 5, v0
	s_mov_b32 s0, exec_lo
	global_load_dword v3, v1, s[10:11]
	v_and_b32_e32 v0, 0x1c00, v0
	v_or_b32_e32 v16, 0x2000, v0
	s_waitcnt vmcnt(0)
	v_ashrrev_i32_e32 v4, 31, v3
	v_lshlrev_b64 v[1:2], 2, v[3:4]
	v_add_co_u32 v4, vcc_lo, s16, v1
	v_add_co_ci_u32_e64 v5, null, s17, v2, vcc_lo
	v_add_co_u32 v7, vcc_lo, s22, v1
	v_add_co_ci_u32_e64 v8, null, s23, v2, vcc_lo
	global_load_dwordx2 v[5:6], v[4:5], off
	global_load_dword v4, v[7:8], off
	s_waitcnt vmcnt(1) lgkmcnt(0)
	v_subrev_nc_u32_e32 v5, s2, v5
	v_subrev_nc_u32_e32 v8, s2, v6
	v_add_nc_u32_e32 v6, v5, v15
	v_cmpx_lt_i32_e64 v6, v8
	s_cbranch_execz .LBB30_13
; %bb.4:
	v_mov_b32_e32 v9, -1
	s_mov_b32 s1, 0
	s_branch .LBB30_6
.LBB30_5:                               ;   in Loop: Header=BB30_6 Depth=1
	s_or_b32 exec_lo, exec_lo, s3
	v_add_nc_u32_e32 v6, 32, v6
	v_cmp_ge_i32_e32 vcc_lo, v6, v8
	s_or_b32 s1, vcc_lo, s1
	s_andn2_b32 exec_lo, exec_lo, s1
	s_cbranch_execz .LBB30_13
.LBB30_6:                               ; =>This Loop Header: Depth=1
                                        ;     Child Loop BB30_9 Depth 2
	v_ashrrev_i32_e32 v7, 31, v6
	s_mov_b32 s3, exec_lo
	v_lshlrev_b64 v[10:11], 2, v[6:7]
	v_add_co_u32 v10, vcc_lo, s18, v10
	v_add_co_ci_u32_e64 v11, null, s19, v11, vcc_lo
	global_load_dword v7, v[10:11], off
	s_waitcnt vmcnt(0)
	v_mul_lo_u32 v10, 0x67, v7
	v_and_b32_e32 v10, 0xff, v10
	v_lshl_add_u32 v11, v10, 2, v16
	ds_read_b32 v12, v11
	s_waitcnt lgkmcnt(0)
	v_cmpx_ne_u32_e64 v12, v7
	s_cbranch_execz .LBB30_5
; %bb.7:                                ;   in Loop: Header=BB30_6 Depth=1
	s_mov_b32 s6, 0
                                        ; implicit-def: $sgpr7
                                        ; implicit-def: $sgpr11
                                        ; implicit-def: $sgpr10
	s_inst_prefetch 0x1
	s_branch .LBB30_9
	.p2align	6
.LBB30_8:                               ;   in Loop: Header=BB30_9 Depth=2
	s_or_b32 exec_lo, exec_lo, s24
	s_and_b32 s24, exec_lo, s11
	s_or_b32 s6, s24, s6
	s_andn2_b32 s7, s7, exec_lo
	s_and_b32 s24, s10, exec_lo
	s_or_b32 s7, s7, s24
	s_andn2_b32 exec_lo, exec_lo, s6
	s_cbranch_execz .LBB30_11
.LBB30_9:                               ;   Parent Loop BB30_6 Depth=1
                                        ; =>  This Inner Loop Header: Depth=2
	ds_cmpst_rtn_b32 v11, v11, v9, v7
	v_mov_b32_e32 v12, v10
	s_or_b32 s10, s10, exec_lo
	s_or_b32 s11, s11, exec_lo
                                        ; implicit-def: $vgpr10
	s_waitcnt lgkmcnt(0)
	v_cmp_ne_u32_e32 vcc_lo, -1, v11
                                        ; implicit-def: $vgpr11
	s_and_saveexec_b32 s24, vcc_lo
	s_cbranch_execz .LBB30_8
; %bb.10:                               ;   in Loop: Header=BB30_9 Depth=2
	v_add_nc_u32_e32 v10, 1, v12
	s_andn2_b32 s11, s11, exec_lo
	s_andn2_b32 s10, s10, exec_lo
	v_and_b32_e32 v10, 0xff, v10
	v_lshl_add_u32 v11, v10, 2, v16
	ds_read_b32 v13, v11
	s_waitcnt lgkmcnt(0)
	v_cmp_eq_u32_e32 vcc_lo, v13, v7
	s_and_b32 s25, vcc_lo, exec_lo
	s_or_b32 s11, s11, s25
	s_branch .LBB30_8
.LBB30_11:                              ;   in Loop: Header=BB30_6 Depth=1
	s_inst_prefetch 0x2
	s_or_b32 exec_lo, exec_lo, s6
	s_and_saveexec_b32 s6, s7
	s_xor_b32 s6, exec_lo, s6
	s_cbranch_execz .LBB30_5
; %bb.12:                               ;   in Loop: Header=BB30_6 Depth=1
	v_lshl_add_u32 v7, v12, 2, v0
	ds_write_b32 v7, v6
	s_branch .LBB30_5
.LBB30_13:
	s_or_b32 exec_lo, exec_lo, s0
	v_mov_b32_e32 v17, 0
	v_mov_b32_e32 v18, 0
	s_mov_b32 s3, exec_lo
	s_waitcnt vmcnt(0) lgkmcnt(0)
	buffer_gl0_inv
	v_cmpx_lt_i32_e64 v5, v4
	s_cbranch_execz .LBB30_35
; %bb.14:
	v_mbcnt_lo_u32_b32 v19, -1, 0
	v_add_nc_u32_e32 v20, -1, v4
	v_subrev_nc_u32_e32 v21, s2, v15
	v_cmp_eq_u32_e64 s0, 31, v15
	v_mov_b32_e32 v17, 0
	v_xor_b32_e32 v22, 16, v19
	v_xor_b32_e32 v23, 8, v19
	;; [unrolled: 1-line block ×5, first 2 shown]
	v_mov_b32_e32 v18, 0
	s_mov_b32 s6, 0
	s_branch .LBB30_17
.LBB30_15:                              ;   in Loop: Header=BB30_17 Depth=1
	s_or_b32 exec_lo, exec_lo, s7
	v_add_nc_u32_e32 v5, 1, v5
	v_cmp_ge_i32_e32 vcc_lo, v5, v4
	s_orn2_b32 s7, vcc_lo, exec_lo
.LBB30_16:                              ;   in Loop: Header=BB30_17 Depth=1
	s_or_b32 exec_lo, exec_lo, s1
	s_and_b32 s1, exec_lo, s7
	s_or_b32 s6, s1, s6
	s_andn2_b32 exec_lo, exec_lo, s6
	s_cbranch_execz .LBB30_34
.LBB30_17:                              ; =>This Loop Header: Depth=1
                                        ;     Child Loop BB30_18 Depth 2
                                        ;     Child Loop BB30_24 Depth 2
                                        ;       Child Loop BB30_27 Depth 3
	v_ashrrev_i32_e32 v6, 31, v5
	s_mov_b32 s1, 0
	v_lshlrev_b64 v[7:8], 2, v[5:6]
	v_lshlrev_b64 v[9:10], 3, v[5:6]
	v_add_co_u32 v7, vcc_lo, s18, v7
	v_add_co_ci_u32_e64 v8, null, s19, v8, vcc_lo
	v_add_co_u32 v6, vcc_lo, s20, v9
	global_load_dword v7, v[7:8], off
	s_waitcnt vmcnt(0)
	v_subrev_nc_u32_e32 v7, s2, v7
	v_ashrrev_i32_e32 v8, 31, v7
	s_waitcnt lgkmcnt(0)
	v_lshlrev_b64 v[27:28], 2, v[7:8]
	v_add_co_ci_u32_e64 v7, null, s21, v10, vcc_lo
	v_add_co_u32 v10, vcc_lo, s16, v27
	v_add_co_ci_u32_e64 v11, null, s17, v28, vcc_lo
	v_add_co_u32 v12, vcc_lo, s22, v27
	v_add_co_ci_u32_e64 v13, null, s23, v28, vcc_lo
	global_load_dwordx2 v[8:9], v[6:7], off
	global_load_dword v14, v[10:11], off
	global_load_dword v12, v[12:13], off
	v_add_co_u32 v10, vcc_lo, s8, v27
	v_add_co_ci_u32_e64 v11, null, s9, v28, vcc_lo
.LBB30_18:                              ;   Parent Loop BB30_17 Depth=1
                                        ; =>  This Inner Loop Header: Depth=2
	global_load_dword v13, v[10:11], off glc dlc
	s_waitcnt vmcnt(0)
	v_cmp_ne_u32_e32 vcc_lo, 0, v13
	s_or_b32 s1, vcc_lo, s1
	s_andn2_b32 exec_lo, exec_lo, s1
	s_cbranch_execnz .LBB30_18
; %bb.19:                               ;   in Loop: Header=BB30_17 Depth=1
	s_or_b32 exec_lo, exec_lo, s1
	v_cmp_eq_u32_e32 vcc_lo, -1, v12
	buffer_gl1_inv
	buffer_gl0_inv
	s_mov_b32 s7, -1
	v_cndmask_b32_e32 v12, v12, v20, vcc_lo
	v_ashrrev_i32_e32 v13, 31, v12
	v_lshlrev_b64 v[10:11], 3, v[12:13]
	v_add_co_u32 v10, vcc_lo, s20, v10
	v_add_co_ci_u32_e64 v11, null, s21, v11, vcc_lo
	global_load_dwordx2 v[10:11], v[10:11], off
	s_waitcnt vmcnt(0)
	v_cmp_neq_f32_e32 vcc_lo, 0, v10
	v_cmp_neq_f32_e64 s1, 0, v11
	s_or_b32 s10, vcc_lo, s1
	s_and_saveexec_b32 s1, s10
	s_cbranch_execz .LBB30_16
; %bb.20:                               ;   in Loop: Header=BB30_17 Depth=1
	v_add_nc_u32_e32 v13, v21, v14
	v_mov_b32_e32 v27, 0
	v_mov_b32_e32 v28, 0
	s_mov_b32 s7, exec_lo
	v_cmpx_lt_i32_e64 v13, v12
	s_cbranch_execz .LBB30_32
; %bb.21:                               ;   in Loop: Header=BB30_17 Depth=1
	v_mov_b32_e32 v27, 0
	v_mov_b32_e32 v28, 0
	s_mov_b32 s10, 0
	s_branch .LBB30_24
.LBB30_22:                              ;   in Loop: Header=BB30_24 Depth=2
	s_or_b32 exec_lo, exec_lo, s24
.LBB30_23:                              ;   in Loop: Header=BB30_24 Depth=2
	s_or_b32 exec_lo, exec_lo, s11
	v_add_nc_u32_e32 v13, 32, v13
	v_cmp_ge_i32_e32 vcc_lo, v13, v12
	s_or_b32 s10, vcc_lo, s10
	s_andn2_b32 exec_lo, exec_lo, s10
	s_cbranch_execz .LBB30_31
.LBB30_24:                              ;   Parent Loop BB30_17 Depth=1
                                        ; =>  This Loop Header: Depth=2
                                        ;       Child Loop BB30_27 Depth 3
	v_ashrrev_i32_e32 v14, 31, v13
	s_mov_b32 s11, exec_lo
	v_lshlrev_b64 v[29:30], 2, v[13:14]
	v_add_co_u32 v29, vcc_lo, s18, v29
	v_add_co_ci_u32_e64 v30, null, s19, v30, vcc_lo
	global_load_dword v29, v[29:30], off
	s_waitcnt vmcnt(0)
	v_mul_lo_u32 v30, 0x67, v29
	v_and_b32_e32 v32, 0xff, v30
	v_lshl_add_u32 v30, v32, 2, v16
	ds_read_b32 v31, v30
	s_waitcnt lgkmcnt(0)
	v_cmpx_ne_u32_e32 -1, v31
	s_cbranch_execz .LBB30_23
; %bb.25:                               ;   in Loop: Header=BB30_24 Depth=2
	s_mov_b32 s25, 0
                                        ; implicit-def: $sgpr24
                                        ; implicit-def: $sgpr27
                                        ; implicit-def: $sgpr26
	s_inst_prefetch 0x1
	s_branch .LBB30_27
	.p2align	6
.LBB30_26:                              ;   in Loop: Header=BB30_27 Depth=3
	s_or_b32 exec_lo, exec_lo, s28
	s_and_b32 s28, exec_lo, s27
	s_or_b32 s25, s28, s25
	s_andn2_b32 s24, s24, exec_lo
	s_and_b32 s28, s26, exec_lo
	s_or_b32 s24, s24, s28
	s_andn2_b32 exec_lo, exec_lo, s25
	s_cbranch_execz .LBB30_29
.LBB30_27:                              ;   Parent Loop BB30_17 Depth=1
                                        ;     Parent Loop BB30_24 Depth=2
                                        ; =>    This Inner Loop Header: Depth=3
	v_mov_b32_e32 v30, v32
	v_cmp_ne_u32_e32 vcc_lo, v31, v29
	s_or_b32 s26, s26, exec_lo
	s_or_b32 s27, s27, exec_lo
                                        ; implicit-def: $vgpr32
                                        ; implicit-def: $vgpr31
	s_and_saveexec_b32 s28, vcc_lo
	s_cbranch_execz .LBB30_26
; %bb.28:                               ;   in Loop: Header=BB30_27 Depth=3
	v_add_nc_u32_e32 v31, 1, v30
	s_andn2_b32 s27, s27, exec_lo
	s_andn2_b32 s26, s26, exec_lo
	v_and_b32_e32 v32, 0xff, v31
	v_lshl_add_u32 v31, v32, 2, v16
	ds_read_b32 v31, v31
	s_waitcnt lgkmcnt(0)
	v_cmp_eq_u32_e32 vcc_lo, -1, v31
	s_and_b32 s29, vcc_lo, exec_lo
	s_or_b32 s27, s27, s29
	s_branch .LBB30_26
.LBB30_29:                              ;   in Loop: Header=BB30_24 Depth=2
	s_inst_prefetch 0x2
	s_or_b32 exec_lo, exec_lo, s25
	s_and_saveexec_b32 s25, s24
	s_xor_b32 s24, exec_lo, s25
	s_cbranch_execz .LBB30_22
; %bb.30:                               ;   in Loop: Header=BB30_24 Depth=2
	v_lshl_add_u32 v29, v30, 2, v0
	v_lshlrev_b64 v[31:32], 3, v[13:14]
	ds_read_b32 v29, v29
	v_add_co_u32 v31, vcc_lo, s20, v31
	v_add_co_ci_u32_e64 v32, null, s21, v32, vcc_lo
	s_waitcnt lgkmcnt(0)
	v_ashrrev_i32_e32 v30, 31, v29
	v_lshlrev_b64 v[29:30], 3, v[29:30]
	v_add_co_u32 v29, vcc_lo, s20, v29
	v_add_co_ci_u32_e64 v30, null, s21, v30, vcc_lo
	s_clause 0x1
	global_load_dwordx2 v[31:32], v[31:32], off
	global_load_dwordx2 v[29:30], v[29:30], off
	s_waitcnt vmcnt(0)
	v_fmac_f32_e32 v28, v31, v29
	v_fmac_f32_e32 v27, v32, v29
	;; [unrolled: 1-line block ×3, first 2 shown]
	v_fma_f32 v27, v31, -v30, v27
	s_branch .LBB30_22
.LBB30_31:                              ;   in Loop: Header=BB30_17 Depth=1
	s_or_b32 exec_lo, exec_lo, s10
.LBB30_32:                              ;   in Loop: Header=BB30_17 Depth=1
	s_or_b32 exec_lo, exec_lo, s7
	v_cmp_gt_i32_e32 vcc_lo, 32, v22
	v_cndmask_b32_e32 v12, v19, v22, vcc_lo
	v_cmp_gt_i32_e32 vcc_lo, 32, v23
	v_lshlrev_b32_e32 v12, 2, v12
	v_cndmask_b32_e32 v14, v19, v23, vcc_lo
	v_cmp_gt_i32_e32 vcc_lo, 32, v24
	ds_bpermute_b32 v13, v12, v28
	ds_bpermute_b32 v12, v12, v27
	v_lshlrev_b32_e32 v14, 2, v14
	s_waitcnt lgkmcnt(1)
	v_add_f32_e32 v13, v28, v13
	s_waitcnt lgkmcnt(0)
	v_add_f32_e32 v12, v27, v12
	v_cndmask_b32_e32 v28, v19, v24, vcc_lo
	v_cmp_gt_i32_e32 vcc_lo, 32, v25
	ds_bpermute_b32 v27, v14, v13
	ds_bpermute_b32 v14, v14, v12
	v_lshlrev_b32_e32 v28, 2, v28
	s_waitcnt lgkmcnt(1)
	v_add_f32_e32 v13, v13, v27
	s_waitcnt lgkmcnt(0)
	v_add_f32_e32 v12, v12, v14
	ds_bpermute_b32 v14, v28, v13
	ds_bpermute_b32 v27, v28, v12
	v_cndmask_b32_e32 v28, v19, v25, vcc_lo
	v_cmp_gt_i32_e32 vcc_lo, 32, v26
	v_lshlrev_b32_e32 v28, 2, v28
	s_waitcnt lgkmcnt(1)
	v_add_f32_e32 v13, v13, v14
	s_waitcnt lgkmcnt(0)
	v_add_f32_e32 v14, v12, v27
	ds_bpermute_b32 v12, v28, v13
	ds_bpermute_b32 v27, v28, v14
	v_cndmask_b32_e32 v28, v19, v26, vcc_lo
	v_lshlrev_b32_e32 v28, 2, v28
	s_waitcnt lgkmcnt(1)
	v_add_f32_e32 v12, v13, v12
	s_waitcnt lgkmcnt(0)
	v_add_f32_e32 v14, v14, v27
	ds_bpermute_b32 v13, v28, v12
	ds_bpermute_b32 v27, v28, v14
	s_and_saveexec_b32 s7, s0
	s_cbranch_execz .LBB30_15
; %bb.33:                               ;   in Loop: Header=BB30_17 Depth=1
	v_mul_f32_e32 v28, v11, v11
	s_waitcnt lgkmcnt(0)
	v_add_f32_e32 v14, v14, v27
	v_add_f32_e32 v12, v12, v13
	v_fmac_f32_e32 v28, v10, v10
	v_sub_f32_e32 v12, v8, v12
	v_div_scale_f32 v29, null, v28, v28, 1.0
	v_div_scale_f32 v32, vcc_lo, 1.0, v28, 1.0
	v_rcp_f32_e32 v30, v29
	v_fma_f32 v31, -v29, v30, 1.0
	v_fmac_f32_e32 v30, v31, v30
	v_mul_f32_e32 v31, v32, v30
	v_fma_f32 v33, -v29, v31, v32
	v_fmac_f32_e32 v31, v33, v30
	v_fma_f32 v29, -v29, v31, v32
	v_div_fmas_f32 v29, v29, v30, v31
	v_fma_f32 v30, v10, 0, -v11
	v_fma_f32 v10, 0, v11, v10
	v_sub_f32_e32 v11, v9, v14
	v_div_fixup_f32 v27, v29, v28, 1.0
	v_mul_f32_e32 v9, v30, v27
	v_mul_f32_e32 v10, v10, v27
	v_mul_f32_e64 v8, v9, -v11
	v_mul_f32_e32 v9, v9, v12
	v_fmac_f32_e32 v8, v12, v10
	v_fmac_f32_e32 v9, v11, v10
	;; [unrolled: 1-line block ×4, first 2 shown]
	global_store_dwordx2 v[6:7], v[8:9], off
	v_fmac_f32_e32 v18, v9, v9
	v_fma_f32 v17, v8, -v9, v17
	s_branch .LBB30_15
.LBB30_34:
	s_or_b32 exec_lo, exec_lo, s6
.LBB30_35:
	s_or_b32 exec_lo, exec_lo, s3
	v_cmp_eq_u32_e64 s0, 31, v15
	v_cmp_lt_i32_e32 vcc_lo, -1, v4
	s_and_b32 s1, s0, vcc_lo
	s_and_saveexec_b32 s3, s1
	s_cbranch_execz .LBB30_52
; %bb.36:
	v_mov_b32_e32 v5, 0
	s_load_dwordx2 s[4:5], s[4:5], 0x48
	v_add_nc_u32_e32 v0, s2, v3
	v_lshlrev_b64 v[4:5], 3, v[4:5]
	v_add_co_u32 v4, vcc_lo, s20, v4
	v_add_co_ci_u32_e64 v5, null, s21, v5, vcc_lo
	global_load_dwordx2 v[6:7], v[4:5], off
	s_waitcnt lgkmcnt(0)
	v_mul_f64 v[8:9], s[4:5], s[4:5]
	s_waitcnt vmcnt(0)
	v_sub_f32_e32 v6, v6, v18
	v_sub_f32_e32 v7, v7, v17
	v_cvt_f64_f32_e32 v[10:11], v6
	v_cmp_eq_f32_e64 s1, 0, v7
	v_cmp_ge_f64_e32 vcc_lo, v[8:9], v[10:11]
	s_and_b32 s2, vcc_lo, s1
	s_and_saveexec_b32 s1, s2
	s_cbranch_execz .LBB30_41
; %bb.37:
	s_mov_b32 s4, exec_lo
	s_brev_b32 s2, -2
.LBB30_38:                              ; =>This Inner Loop Header: Depth=1
	s_ff1_i32_b32 s5, s4
	v_readlane_b32 s6, v0, s5
	s_lshl_b32 s5, 1, s5
	s_andn2_b32 s4, s4, s5
	s_min_i32 s2, s2, s6
	s_cmp_lg_u32 s4, 0
	s_cbranch_scc1 .LBB30_38
; %bb.39:
	v_mbcnt_lo_u32_b32 v3, exec_lo, 0
	s_mov_b32 s4, exec_lo
	v_cmpx_eq_u32_e32 0, v3
	s_xor_b32 s4, exec_lo, s4
	s_cbranch_execz .LBB30_41
; %bb.40:
	v_mov_b32_e32 v3, 0
	v_mov_b32_e32 v8, s2
	global_atomic_smin v3, v8, s[14:15]
.LBB30_41:
	s_or_b32 exec_lo, exec_lo, s1
	v_cmp_gt_f32_e32 vcc_lo, 0, v6
                                        ; implicit-def: $vgpr8
	s_mov_b32 s1, exec_lo
	v_cndmask_b32_e64 v3, v6, -v6, vcc_lo
	v_cmp_gt_f32_e32 vcc_lo, 0, v7
	v_cndmask_b32_e64 v6, v7, -v7, vcc_lo
	v_cmpx_ngt_f32_e32 v3, v6
	s_xor_b32 s2, exec_lo, s1
	s_cbranch_execz .LBB30_45
; %bb.42:
	v_mov_b32_e32 v8, 0
	s_mov_b32 s4, exec_lo
	v_cmpx_neq_f32_e32 0, v7
	s_cbranch_execz .LBB30_44
; %bb.43:
	v_div_scale_f32 v7, null, v6, v6, v3
	v_div_scale_f32 v10, vcc_lo, v3, v6, v3
	v_rcp_f32_e32 v8, v7
	v_fma_f32 v9, -v7, v8, 1.0
	v_fmac_f32_e32 v8, v9, v8
	v_mul_f32_e32 v9, v10, v8
	v_fma_f32 v11, -v7, v9, v10
	v_fmac_f32_e32 v9, v11, v8
	v_fma_f32 v7, -v7, v9, v10
	v_div_fmas_f32 v7, v7, v8, v9
	v_div_fixup_f32 v3, v7, v6, v3
	v_fma_f32 v3, v3, v3, 1.0
	v_mul_f32_e32 v7, 0x4f800000, v3
	v_cmp_gt_f32_e32 vcc_lo, 0xf800000, v3
	v_cndmask_b32_e32 v3, v3, v7, vcc_lo
	v_sqrt_f32_e32 v7, v3
	v_add_nc_u32_e32 v8, -1, v7
	v_add_nc_u32_e32 v9, 1, v7
	v_fma_f32 v10, -v8, v7, v3
	v_fma_f32 v11, -v9, v7, v3
	v_cmp_ge_f32_e64 s1, 0, v10
	v_cndmask_b32_e64 v7, v7, v8, s1
	v_cmp_lt_f32_e64 s1, 0, v11
	v_cndmask_b32_e64 v7, v7, v9, s1
	v_mul_f32_e32 v8, 0x37800000, v7
	v_cndmask_b32_e32 v7, v7, v8, vcc_lo
	v_cmp_class_f32_e64 vcc_lo, v3, 0x260
	v_cndmask_b32_e32 v3, v7, v3, vcc_lo
	v_mul_f32_e32 v8, v6, v3
.LBB30_44:
	s_or_b32 exec_lo, exec_lo, s4
                                        ; implicit-def: $vgpr3
                                        ; implicit-def: $vgpr6
.LBB30_45:
	s_andn2_saveexec_b32 s2, s2
	s_cbranch_execz .LBB30_47
; %bb.46:
	v_div_scale_f32 v7, null, v3, v3, v6
	v_div_scale_f32 v10, vcc_lo, v6, v3, v6
	v_rcp_f32_e32 v8, v7
	v_fma_f32 v9, -v7, v8, 1.0
	v_fmac_f32_e32 v8, v9, v8
	v_mul_f32_e32 v9, v10, v8
	v_fma_f32 v11, -v7, v9, v10
	v_fmac_f32_e32 v9, v11, v8
	v_fma_f32 v7, -v7, v9, v10
	v_div_fmas_f32 v7, v7, v8, v9
	v_div_fixup_f32 v6, v7, v3, v6
	v_fma_f32 v6, v6, v6, 1.0
	v_mul_f32_e32 v7, 0x4f800000, v6
	v_cmp_gt_f32_e32 vcc_lo, 0xf800000, v6
	v_cndmask_b32_e32 v6, v6, v7, vcc_lo
	v_sqrt_f32_e32 v7, v6
	v_add_nc_u32_e32 v8, -1, v7
	v_add_nc_u32_e32 v9, 1, v7
	v_fma_f32 v10, -v8, v7, v6
	v_fma_f32 v11, -v9, v7, v6
	v_cmp_ge_f32_e64 s1, 0, v10
	v_cndmask_b32_e64 v7, v7, v8, s1
	v_cmp_lt_f32_e64 s1, 0, v11
	v_cndmask_b32_e64 v7, v7, v9, s1
	v_mul_f32_e32 v8, 0x37800000, v7
	v_cndmask_b32_e32 v7, v7, v8, vcc_lo
	v_cmp_class_f32_e64 vcc_lo, v6, 0x260
	v_cndmask_b32_e32 v6, v7, v6, vcc_lo
	v_mul_f32_e32 v8, v3, v6
.LBB30_47:
	s_or_b32 exec_lo, exec_lo, s2
	v_mul_f32_e32 v3, 0x4f800000, v8
	v_cmp_gt_f32_e32 vcc_lo, 0xf800000, v8
	v_cndmask_b32_e32 v3, v8, v3, vcc_lo
	v_sqrt_f32_e32 v6, v3
	v_add_nc_u32_e32 v7, -1, v6
	v_add_nc_u32_e32 v9, 1, v6
	v_fma_f32 v10, -v7, v6, v3
	v_fma_f32 v11, -v9, v6, v3
	v_cmp_ge_f32_e64 s1, 0, v10
	v_cndmask_b32_e64 v6, v6, v7, s1
	v_cmp_lt_f32_e64 s1, 0, v11
	v_cndmask_b32_e64 v6, v6, v9, s1
	v_mul_f32_e32 v7, 0x37800000, v6
	v_cndmask_b32_e32 v6, v6, v7, vcc_lo
	v_cmp_class_f32_e64 vcc_lo, v3, 0x260
	v_mov_b32_e32 v7, 0
	v_cndmask_b32_e32 v6, v6, v3, vcc_lo
	v_cmp_eq_f32_e32 vcc_lo, 0, v8
	global_store_dwordx2 v[4:5], v[6:7], off
	s_and_b32 exec_lo, exec_lo, vcc_lo
	s_cbranch_execz .LBB30_52
; %bb.48:
	s_mov_b32 s2, exec_lo
	s_brev_b32 s1, -2
.LBB30_49:                              ; =>This Inner Loop Header: Depth=1
	s_ff1_i32_b32 s4, s2
	v_readlane_b32 s5, v0, s4
	s_lshl_b32 s4, 1, s4
	s_andn2_b32 s2, s2, s4
	s_min_i32 s1, s1, s5
	s_cmp_lg_u32 s2, 0
	s_cbranch_scc1 .LBB30_49
; %bb.50:
	v_mbcnt_lo_u32_b32 v0, exec_lo, 0
	s_mov_b32 s2, exec_lo
	v_cmpx_eq_u32_e32 0, v0
	s_xor_b32 s2, exec_lo, s2
	s_cbranch_execz .LBB30_52
; %bb.51:
	v_mov_b32_e32 v0, 0
	v_mov_b32_e32 v3, s1
	global_atomic_smin v0, v3, s[12:13]
.LBB30_52:
	s_or_b32 exec_lo, exec_lo, s3
	s_and_b32 exec_lo, exec_lo, s0
	s_cbranch_execz .LBB30_54
; %bb.53:
	v_add_co_u32 v0, vcc_lo, s8, v1
	v_add_co_ci_u32_e64 v1, null, s9, v2, vcc_lo
	v_mov_b32_e32 v2, 1
	s_waitcnt lgkmcnt(0)
	s_waitcnt_vscnt null, 0x0
	global_store_dword v[0:1], v2, off
.LBB30_54:
	s_endpgm
	.section	.rodata,"a",@progbits
	.p2align	6, 0x0
	.amdhsa_kernel _ZN9rocsparseL18csric0_hash_kernelILj256ELj32ELj8E21rocsparse_complex_numIfEEEviPKiS4_PT2_S4_PiS4_S7_S7_d21rocsparse_index_base_
		.amdhsa_group_segment_fixed_size 16384
		.amdhsa_private_segment_fixed_size 0
		.amdhsa_kernarg_size 84
		.amdhsa_user_sgpr_count 6
		.amdhsa_user_sgpr_private_segment_buffer 1
		.amdhsa_user_sgpr_dispatch_ptr 0
		.amdhsa_user_sgpr_queue_ptr 0
		.amdhsa_user_sgpr_kernarg_segment_ptr 1
		.amdhsa_user_sgpr_dispatch_id 0
		.amdhsa_user_sgpr_flat_scratch_init 0
		.amdhsa_user_sgpr_private_segment_size 0
		.amdhsa_wavefront_size32 1
		.amdhsa_uses_dynamic_stack 0
		.amdhsa_system_sgpr_private_segment_wavefront_offset 0
		.amdhsa_system_sgpr_workgroup_id_x 1
		.amdhsa_system_sgpr_workgroup_id_y 0
		.amdhsa_system_sgpr_workgroup_id_z 0
		.amdhsa_system_sgpr_workgroup_info 0
		.amdhsa_system_vgpr_workitem_id 0
		.amdhsa_next_free_vgpr 34
		.amdhsa_next_free_sgpr 30
		.amdhsa_reserve_vcc 1
		.amdhsa_reserve_flat_scratch 0
		.amdhsa_float_round_mode_32 0
		.amdhsa_float_round_mode_16_64 0
		.amdhsa_float_denorm_mode_32 3
		.amdhsa_float_denorm_mode_16_64 3
		.amdhsa_dx10_clamp 1
		.amdhsa_ieee_mode 1
		.amdhsa_fp16_overflow 0
		.amdhsa_workgroup_processor_mode 1
		.amdhsa_memory_ordered 1
		.amdhsa_forward_progress 1
		.amdhsa_shared_vgpr_count 0
		.amdhsa_exception_fp_ieee_invalid_op 0
		.amdhsa_exception_fp_denorm_src 0
		.amdhsa_exception_fp_ieee_div_zero 0
		.amdhsa_exception_fp_ieee_overflow 0
		.amdhsa_exception_fp_ieee_underflow 0
		.amdhsa_exception_fp_ieee_inexact 0
		.amdhsa_exception_int_div_zero 0
	.end_amdhsa_kernel
	.section	.text._ZN9rocsparseL18csric0_hash_kernelILj256ELj32ELj8E21rocsparse_complex_numIfEEEviPKiS4_PT2_S4_PiS4_S7_S7_d21rocsparse_index_base_,"axG",@progbits,_ZN9rocsparseL18csric0_hash_kernelILj256ELj32ELj8E21rocsparse_complex_numIfEEEviPKiS4_PT2_S4_PiS4_S7_S7_d21rocsparse_index_base_,comdat
.Lfunc_end30:
	.size	_ZN9rocsparseL18csric0_hash_kernelILj256ELj32ELj8E21rocsparse_complex_numIfEEEviPKiS4_PT2_S4_PiS4_S7_S7_d21rocsparse_index_base_, .Lfunc_end30-_ZN9rocsparseL18csric0_hash_kernelILj256ELj32ELj8E21rocsparse_complex_numIfEEEviPKiS4_PT2_S4_PiS4_S7_S7_d21rocsparse_index_base_
                                        ; -- End function
	.set _ZN9rocsparseL18csric0_hash_kernelILj256ELj32ELj8E21rocsparse_complex_numIfEEEviPKiS4_PT2_S4_PiS4_S7_S7_d21rocsparse_index_base_.num_vgpr, 34
	.set _ZN9rocsparseL18csric0_hash_kernelILj256ELj32ELj8E21rocsparse_complex_numIfEEEviPKiS4_PT2_S4_PiS4_S7_S7_d21rocsparse_index_base_.num_agpr, 0
	.set _ZN9rocsparseL18csric0_hash_kernelILj256ELj32ELj8E21rocsparse_complex_numIfEEEviPKiS4_PT2_S4_PiS4_S7_S7_d21rocsparse_index_base_.numbered_sgpr, 30
	.set _ZN9rocsparseL18csric0_hash_kernelILj256ELj32ELj8E21rocsparse_complex_numIfEEEviPKiS4_PT2_S4_PiS4_S7_S7_d21rocsparse_index_base_.num_named_barrier, 0
	.set _ZN9rocsparseL18csric0_hash_kernelILj256ELj32ELj8E21rocsparse_complex_numIfEEEviPKiS4_PT2_S4_PiS4_S7_S7_d21rocsparse_index_base_.private_seg_size, 0
	.set _ZN9rocsparseL18csric0_hash_kernelILj256ELj32ELj8E21rocsparse_complex_numIfEEEviPKiS4_PT2_S4_PiS4_S7_S7_d21rocsparse_index_base_.uses_vcc, 1
	.set _ZN9rocsparseL18csric0_hash_kernelILj256ELj32ELj8E21rocsparse_complex_numIfEEEviPKiS4_PT2_S4_PiS4_S7_S7_d21rocsparse_index_base_.uses_flat_scratch, 0
	.set _ZN9rocsparseL18csric0_hash_kernelILj256ELj32ELj8E21rocsparse_complex_numIfEEEviPKiS4_PT2_S4_PiS4_S7_S7_d21rocsparse_index_base_.has_dyn_sized_stack, 0
	.set _ZN9rocsparseL18csric0_hash_kernelILj256ELj32ELj8E21rocsparse_complex_numIfEEEviPKiS4_PT2_S4_PiS4_S7_S7_d21rocsparse_index_base_.has_recursion, 0
	.set _ZN9rocsparseL18csric0_hash_kernelILj256ELj32ELj8E21rocsparse_complex_numIfEEEviPKiS4_PT2_S4_PiS4_S7_S7_d21rocsparse_index_base_.has_indirect_call, 0
	.section	.AMDGPU.csdata,"",@progbits
; Kernel info:
; codeLenInByte = 2800
; TotalNumSgprs: 32
; NumVgprs: 34
; ScratchSize: 0
; MemoryBound: 0
; FloatMode: 240
; IeeeMode: 1
; LDSByteSize: 16384 bytes/workgroup (compile time only)
; SGPRBlocks: 0
; VGPRBlocks: 4
; NumSGPRsForWavesPerEU: 32
; NumVGPRsForWavesPerEU: 34
; Occupancy: 16
; WaveLimiterHint : 1
; COMPUTE_PGM_RSRC2:SCRATCH_EN: 0
; COMPUTE_PGM_RSRC2:USER_SGPR: 6
; COMPUTE_PGM_RSRC2:TRAP_HANDLER: 0
; COMPUTE_PGM_RSRC2:TGID_X_EN: 1
; COMPUTE_PGM_RSRC2:TGID_Y_EN: 0
; COMPUTE_PGM_RSRC2:TGID_Z_EN: 0
; COMPUTE_PGM_RSRC2:TIDIG_COMP_CNT: 0
	.section	.text._ZN9rocsparseL18csric0_hash_kernelILj256ELj32ELj16E21rocsparse_complex_numIfEEEviPKiS4_PT2_S4_PiS4_S7_S7_d21rocsparse_index_base_,"axG",@progbits,_ZN9rocsparseL18csric0_hash_kernelILj256ELj32ELj16E21rocsparse_complex_numIfEEEviPKiS4_PT2_S4_PiS4_S7_S7_d21rocsparse_index_base_,comdat
	.globl	_ZN9rocsparseL18csric0_hash_kernelILj256ELj32ELj16E21rocsparse_complex_numIfEEEviPKiS4_PT2_S4_PiS4_S7_S7_d21rocsparse_index_base_ ; -- Begin function _ZN9rocsparseL18csric0_hash_kernelILj256ELj32ELj16E21rocsparse_complex_numIfEEEviPKiS4_PT2_S4_PiS4_S7_S7_d21rocsparse_index_base_
	.p2align	8
	.type	_ZN9rocsparseL18csric0_hash_kernelILj256ELj32ELj16E21rocsparse_complex_numIfEEEviPKiS4_PT2_S4_PiS4_S7_S7_d21rocsparse_index_base_,@function
_ZN9rocsparseL18csric0_hash_kernelILj256ELj32ELj16E21rocsparse_complex_numIfEEEviPKiS4_PT2_S4_PiS4_S7_S7_d21rocsparse_index_base_: ; @_ZN9rocsparseL18csric0_hash_kernelILj256ELj32ELj16E21rocsparse_complex_numIfEEEviPKiS4_PT2_S4_PiS4_S7_S7_d21rocsparse_index_base_
; %bb.0:
	s_clause 0x1
	s_load_dwordx8 s[16:23], s[4:5], 0x8
	s_load_dwordx8 s[8:15], s[4:5], 0x28
	v_lshrrev_b32_e32 v1, 5, v0
	v_and_b32_e32 v15, 31, v0
	s_mov_b32 s0, 0
	v_lshlrev_b32_e32 v3, 11, v1
	v_lshlrev_b32_e32 v4, 2, v15
	v_or_b32_e32 v2, 0xffffffe0, v15
	v_or3_b32 v3, v3, v4, 0x4000
	v_mov_b32_e32 v4, -1
.LBB31_1:                               ; =>This Inner Loop Header: Depth=1
	v_add_nc_u32_e32 v2, 32, v2
	ds_write_b32 v3, v4
	v_add_nc_u32_e32 v3, 0x80, v3
	v_cmp_lt_u32_e32 vcc_lo, 0x1df, v2
	s_or_b32 s0, vcc_lo, s0
	s_andn2_b32 exec_lo, exec_lo, s0
	s_cbranch_execnz .LBB31_1
; %bb.2:
	s_or_b32 exec_lo, exec_lo, s0
	s_load_dword s0, s[4:5], 0x0
	s_lshl_b32 s1, s6, 3
	s_waitcnt lgkmcnt(0)
	buffer_gl0_inv
	v_and_or_b32 v1, 0x7fffff8, s1, v1
	v_cmp_gt_i32_e32 vcc_lo, s0, v1
	s_and_saveexec_b32 s0, vcc_lo
	s_cbranch_execz .LBB31_54
; %bb.3:
	v_lshlrev_b32_e32 v1, 2, v1
	s_load_dword s2, s[4:5], 0x50
	v_lshlrev_b32_e32 v0, 6, v0
	s_mov_b32 s0, exec_lo
	global_load_dword v3, v1, s[10:11]
	v_and_b32_e32 v0, 0x3800, v0
	v_or_b32_e32 v16, 0x4000, v0
	s_waitcnt vmcnt(0)
	v_ashrrev_i32_e32 v4, 31, v3
	v_lshlrev_b64 v[1:2], 2, v[3:4]
	v_add_co_u32 v4, vcc_lo, s16, v1
	v_add_co_ci_u32_e64 v5, null, s17, v2, vcc_lo
	v_add_co_u32 v7, vcc_lo, s22, v1
	v_add_co_ci_u32_e64 v8, null, s23, v2, vcc_lo
	global_load_dwordx2 v[5:6], v[4:5], off
	global_load_dword v4, v[7:8], off
	s_waitcnt vmcnt(1) lgkmcnt(0)
	v_subrev_nc_u32_e32 v5, s2, v5
	v_subrev_nc_u32_e32 v8, s2, v6
	v_add_nc_u32_e32 v6, v5, v15
	v_cmpx_lt_i32_e64 v6, v8
	s_cbranch_execz .LBB31_13
; %bb.4:
	v_mov_b32_e32 v9, -1
	s_mov_b32 s1, 0
	s_branch .LBB31_6
.LBB31_5:                               ;   in Loop: Header=BB31_6 Depth=1
	s_or_b32 exec_lo, exec_lo, s3
	v_add_nc_u32_e32 v6, 32, v6
	v_cmp_ge_i32_e32 vcc_lo, v6, v8
	s_or_b32 s1, vcc_lo, s1
	s_andn2_b32 exec_lo, exec_lo, s1
	s_cbranch_execz .LBB31_13
.LBB31_6:                               ; =>This Loop Header: Depth=1
                                        ;     Child Loop BB31_9 Depth 2
	v_ashrrev_i32_e32 v7, 31, v6
	s_mov_b32 s3, exec_lo
	v_lshlrev_b64 v[10:11], 2, v[6:7]
	v_add_co_u32 v10, vcc_lo, s18, v10
	v_add_co_ci_u32_e64 v11, null, s19, v11, vcc_lo
	global_load_dword v7, v[10:11], off
	s_waitcnt vmcnt(0)
	v_mul_lo_u32 v10, 0x67, v7
	v_and_b32_e32 v10, 0x1ff, v10
	v_lshl_add_u32 v11, v10, 2, v16
	ds_read_b32 v12, v11
	s_waitcnt lgkmcnt(0)
	v_cmpx_ne_u32_e64 v12, v7
	s_cbranch_execz .LBB31_5
; %bb.7:                                ;   in Loop: Header=BB31_6 Depth=1
	s_mov_b32 s6, 0
                                        ; implicit-def: $sgpr7
                                        ; implicit-def: $sgpr11
                                        ; implicit-def: $sgpr10
	s_inst_prefetch 0x1
	s_branch .LBB31_9
	.p2align	6
.LBB31_8:                               ;   in Loop: Header=BB31_9 Depth=2
	s_or_b32 exec_lo, exec_lo, s24
	s_and_b32 s24, exec_lo, s11
	s_or_b32 s6, s24, s6
	s_andn2_b32 s7, s7, exec_lo
	s_and_b32 s24, s10, exec_lo
	s_or_b32 s7, s7, s24
	s_andn2_b32 exec_lo, exec_lo, s6
	s_cbranch_execz .LBB31_11
.LBB31_9:                               ;   Parent Loop BB31_6 Depth=1
                                        ; =>  This Inner Loop Header: Depth=2
	ds_cmpst_rtn_b32 v11, v11, v9, v7
	v_mov_b32_e32 v12, v10
	s_or_b32 s10, s10, exec_lo
	s_or_b32 s11, s11, exec_lo
                                        ; implicit-def: $vgpr10
	s_waitcnt lgkmcnt(0)
	v_cmp_ne_u32_e32 vcc_lo, -1, v11
                                        ; implicit-def: $vgpr11
	s_and_saveexec_b32 s24, vcc_lo
	s_cbranch_execz .LBB31_8
; %bb.10:                               ;   in Loop: Header=BB31_9 Depth=2
	v_add_nc_u32_e32 v10, 1, v12
	s_andn2_b32 s11, s11, exec_lo
	s_andn2_b32 s10, s10, exec_lo
	v_and_b32_e32 v10, 0x1ff, v10
	v_lshl_add_u32 v11, v10, 2, v16
	ds_read_b32 v13, v11
	s_waitcnt lgkmcnt(0)
	v_cmp_eq_u32_e32 vcc_lo, v13, v7
	s_and_b32 s25, vcc_lo, exec_lo
	s_or_b32 s11, s11, s25
	s_branch .LBB31_8
.LBB31_11:                              ;   in Loop: Header=BB31_6 Depth=1
	s_inst_prefetch 0x2
	s_or_b32 exec_lo, exec_lo, s6
	s_and_saveexec_b32 s6, s7
	s_xor_b32 s6, exec_lo, s6
	s_cbranch_execz .LBB31_5
; %bb.12:                               ;   in Loop: Header=BB31_6 Depth=1
	v_lshl_add_u32 v7, v12, 2, v0
	ds_write_b32 v7, v6
	s_branch .LBB31_5
.LBB31_13:
	s_or_b32 exec_lo, exec_lo, s0
	v_mov_b32_e32 v17, 0
	v_mov_b32_e32 v18, 0
	s_mov_b32 s3, exec_lo
	s_waitcnt vmcnt(0) lgkmcnt(0)
	buffer_gl0_inv
	v_cmpx_lt_i32_e64 v5, v4
	s_cbranch_execz .LBB31_35
; %bb.14:
	v_mbcnt_lo_u32_b32 v19, -1, 0
	v_add_nc_u32_e32 v20, -1, v4
	v_subrev_nc_u32_e32 v21, s2, v15
	v_cmp_eq_u32_e64 s0, 31, v15
	v_mov_b32_e32 v17, 0
	v_xor_b32_e32 v22, 16, v19
	v_xor_b32_e32 v23, 8, v19
	;; [unrolled: 1-line block ×5, first 2 shown]
	v_mov_b32_e32 v18, 0
	s_mov_b32 s6, 0
	s_branch .LBB31_17
.LBB31_15:                              ;   in Loop: Header=BB31_17 Depth=1
	s_or_b32 exec_lo, exec_lo, s7
	v_add_nc_u32_e32 v5, 1, v5
	v_cmp_ge_i32_e32 vcc_lo, v5, v4
	s_orn2_b32 s7, vcc_lo, exec_lo
.LBB31_16:                              ;   in Loop: Header=BB31_17 Depth=1
	s_or_b32 exec_lo, exec_lo, s1
	s_and_b32 s1, exec_lo, s7
	s_or_b32 s6, s1, s6
	s_andn2_b32 exec_lo, exec_lo, s6
	s_cbranch_execz .LBB31_34
.LBB31_17:                              ; =>This Loop Header: Depth=1
                                        ;     Child Loop BB31_18 Depth 2
                                        ;     Child Loop BB31_24 Depth 2
                                        ;       Child Loop BB31_27 Depth 3
	v_ashrrev_i32_e32 v6, 31, v5
	s_mov_b32 s1, 0
	v_lshlrev_b64 v[7:8], 2, v[5:6]
	v_lshlrev_b64 v[9:10], 3, v[5:6]
	v_add_co_u32 v7, vcc_lo, s18, v7
	v_add_co_ci_u32_e64 v8, null, s19, v8, vcc_lo
	v_add_co_u32 v6, vcc_lo, s20, v9
	global_load_dword v7, v[7:8], off
	s_waitcnt vmcnt(0)
	v_subrev_nc_u32_e32 v7, s2, v7
	v_ashrrev_i32_e32 v8, 31, v7
	s_waitcnt lgkmcnt(0)
	v_lshlrev_b64 v[27:28], 2, v[7:8]
	v_add_co_ci_u32_e64 v7, null, s21, v10, vcc_lo
	v_add_co_u32 v10, vcc_lo, s16, v27
	v_add_co_ci_u32_e64 v11, null, s17, v28, vcc_lo
	v_add_co_u32 v12, vcc_lo, s22, v27
	v_add_co_ci_u32_e64 v13, null, s23, v28, vcc_lo
	global_load_dwordx2 v[8:9], v[6:7], off
	global_load_dword v14, v[10:11], off
	global_load_dword v12, v[12:13], off
	v_add_co_u32 v10, vcc_lo, s8, v27
	v_add_co_ci_u32_e64 v11, null, s9, v28, vcc_lo
.LBB31_18:                              ;   Parent Loop BB31_17 Depth=1
                                        ; =>  This Inner Loop Header: Depth=2
	global_load_dword v13, v[10:11], off glc dlc
	s_waitcnt vmcnt(0)
	v_cmp_ne_u32_e32 vcc_lo, 0, v13
	s_or_b32 s1, vcc_lo, s1
	s_andn2_b32 exec_lo, exec_lo, s1
	s_cbranch_execnz .LBB31_18
; %bb.19:                               ;   in Loop: Header=BB31_17 Depth=1
	s_or_b32 exec_lo, exec_lo, s1
	v_cmp_eq_u32_e32 vcc_lo, -1, v12
	buffer_gl1_inv
	buffer_gl0_inv
	s_mov_b32 s7, -1
	v_cndmask_b32_e32 v12, v12, v20, vcc_lo
	v_ashrrev_i32_e32 v13, 31, v12
	v_lshlrev_b64 v[10:11], 3, v[12:13]
	v_add_co_u32 v10, vcc_lo, s20, v10
	v_add_co_ci_u32_e64 v11, null, s21, v11, vcc_lo
	global_load_dwordx2 v[10:11], v[10:11], off
	s_waitcnt vmcnt(0)
	v_cmp_neq_f32_e32 vcc_lo, 0, v10
	v_cmp_neq_f32_e64 s1, 0, v11
	s_or_b32 s10, vcc_lo, s1
	s_and_saveexec_b32 s1, s10
	s_cbranch_execz .LBB31_16
; %bb.20:                               ;   in Loop: Header=BB31_17 Depth=1
	v_add_nc_u32_e32 v13, v21, v14
	v_mov_b32_e32 v27, 0
	v_mov_b32_e32 v28, 0
	s_mov_b32 s7, exec_lo
	v_cmpx_lt_i32_e64 v13, v12
	s_cbranch_execz .LBB31_32
; %bb.21:                               ;   in Loop: Header=BB31_17 Depth=1
	v_mov_b32_e32 v27, 0
	v_mov_b32_e32 v28, 0
	s_mov_b32 s10, 0
	s_branch .LBB31_24
.LBB31_22:                              ;   in Loop: Header=BB31_24 Depth=2
	s_or_b32 exec_lo, exec_lo, s24
.LBB31_23:                              ;   in Loop: Header=BB31_24 Depth=2
	s_or_b32 exec_lo, exec_lo, s11
	v_add_nc_u32_e32 v13, 32, v13
	v_cmp_ge_i32_e32 vcc_lo, v13, v12
	s_or_b32 s10, vcc_lo, s10
	s_andn2_b32 exec_lo, exec_lo, s10
	s_cbranch_execz .LBB31_31
.LBB31_24:                              ;   Parent Loop BB31_17 Depth=1
                                        ; =>  This Loop Header: Depth=2
                                        ;       Child Loop BB31_27 Depth 3
	v_ashrrev_i32_e32 v14, 31, v13
	s_mov_b32 s11, exec_lo
	v_lshlrev_b64 v[29:30], 2, v[13:14]
	v_add_co_u32 v29, vcc_lo, s18, v29
	v_add_co_ci_u32_e64 v30, null, s19, v30, vcc_lo
	global_load_dword v29, v[29:30], off
	s_waitcnt vmcnt(0)
	v_mul_lo_u32 v30, 0x67, v29
	v_and_b32_e32 v32, 0x1ff, v30
	v_lshl_add_u32 v30, v32, 2, v16
	ds_read_b32 v31, v30
	s_waitcnt lgkmcnt(0)
	v_cmpx_ne_u32_e32 -1, v31
	s_cbranch_execz .LBB31_23
; %bb.25:                               ;   in Loop: Header=BB31_24 Depth=2
	s_mov_b32 s25, 0
                                        ; implicit-def: $sgpr24
                                        ; implicit-def: $sgpr27
                                        ; implicit-def: $sgpr26
	s_inst_prefetch 0x1
	s_branch .LBB31_27
	.p2align	6
.LBB31_26:                              ;   in Loop: Header=BB31_27 Depth=3
	s_or_b32 exec_lo, exec_lo, s28
	s_and_b32 s28, exec_lo, s27
	s_or_b32 s25, s28, s25
	s_andn2_b32 s24, s24, exec_lo
	s_and_b32 s28, s26, exec_lo
	s_or_b32 s24, s24, s28
	s_andn2_b32 exec_lo, exec_lo, s25
	s_cbranch_execz .LBB31_29
.LBB31_27:                              ;   Parent Loop BB31_17 Depth=1
                                        ;     Parent Loop BB31_24 Depth=2
                                        ; =>    This Inner Loop Header: Depth=3
	v_mov_b32_e32 v30, v32
	v_cmp_ne_u32_e32 vcc_lo, v31, v29
	s_or_b32 s26, s26, exec_lo
	s_or_b32 s27, s27, exec_lo
                                        ; implicit-def: $vgpr32
                                        ; implicit-def: $vgpr31
	s_and_saveexec_b32 s28, vcc_lo
	s_cbranch_execz .LBB31_26
; %bb.28:                               ;   in Loop: Header=BB31_27 Depth=3
	v_add_nc_u32_e32 v31, 1, v30
	s_andn2_b32 s27, s27, exec_lo
	s_andn2_b32 s26, s26, exec_lo
	v_and_b32_e32 v32, 0x1ff, v31
	v_lshl_add_u32 v31, v32, 2, v16
	ds_read_b32 v31, v31
	s_waitcnt lgkmcnt(0)
	v_cmp_eq_u32_e32 vcc_lo, -1, v31
	s_and_b32 s29, vcc_lo, exec_lo
	s_or_b32 s27, s27, s29
	s_branch .LBB31_26
.LBB31_29:                              ;   in Loop: Header=BB31_24 Depth=2
	s_inst_prefetch 0x2
	s_or_b32 exec_lo, exec_lo, s25
	s_and_saveexec_b32 s25, s24
	s_xor_b32 s24, exec_lo, s25
	s_cbranch_execz .LBB31_22
; %bb.30:                               ;   in Loop: Header=BB31_24 Depth=2
	v_lshl_add_u32 v29, v30, 2, v0
	v_lshlrev_b64 v[31:32], 3, v[13:14]
	ds_read_b32 v29, v29
	v_add_co_u32 v31, vcc_lo, s20, v31
	v_add_co_ci_u32_e64 v32, null, s21, v32, vcc_lo
	s_waitcnt lgkmcnt(0)
	v_ashrrev_i32_e32 v30, 31, v29
	v_lshlrev_b64 v[29:30], 3, v[29:30]
	v_add_co_u32 v29, vcc_lo, s20, v29
	v_add_co_ci_u32_e64 v30, null, s21, v30, vcc_lo
	s_clause 0x1
	global_load_dwordx2 v[31:32], v[31:32], off
	global_load_dwordx2 v[29:30], v[29:30], off
	s_waitcnt vmcnt(0)
	v_fmac_f32_e32 v28, v31, v29
	v_fmac_f32_e32 v27, v32, v29
	;; [unrolled: 1-line block ×3, first 2 shown]
	v_fma_f32 v27, v31, -v30, v27
	s_branch .LBB31_22
.LBB31_31:                              ;   in Loop: Header=BB31_17 Depth=1
	s_or_b32 exec_lo, exec_lo, s10
.LBB31_32:                              ;   in Loop: Header=BB31_17 Depth=1
	s_or_b32 exec_lo, exec_lo, s7
	v_cmp_gt_i32_e32 vcc_lo, 32, v22
	v_cndmask_b32_e32 v12, v19, v22, vcc_lo
	v_cmp_gt_i32_e32 vcc_lo, 32, v23
	v_lshlrev_b32_e32 v12, 2, v12
	v_cndmask_b32_e32 v14, v19, v23, vcc_lo
	v_cmp_gt_i32_e32 vcc_lo, 32, v24
	ds_bpermute_b32 v13, v12, v28
	ds_bpermute_b32 v12, v12, v27
	v_lshlrev_b32_e32 v14, 2, v14
	s_waitcnt lgkmcnt(1)
	v_add_f32_e32 v13, v28, v13
	s_waitcnt lgkmcnt(0)
	v_add_f32_e32 v12, v27, v12
	v_cndmask_b32_e32 v28, v19, v24, vcc_lo
	v_cmp_gt_i32_e32 vcc_lo, 32, v25
	ds_bpermute_b32 v27, v14, v13
	ds_bpermute_b32 v14, v14, v12
	v_lshlrev_b32_e32 v28, 2, v28
	s_waitcnt lgkmcnt(1)
	v_add_f32_e32 v13, v13, v27
	s_waitcnt lgkmcnt(0)
	v_add_f32_e32 v12, v12, v14
	ds_bpermute_b32 v14, v28, v13
	ds_bpermute_b32 v27, v28, v12
	v_cndmask_b32_e32 v28, v19, v25, vcc_lo
	v_cmp_gt_i32_e32 vcc_lo, 32, v26
	v_lshlrev_b32_e32 v28, 2, v28
	s_waitcnt lgkmcnt(1)
	v_add_f32_e32 v13, v13, v14
	s_waitcnt lgkmcnt(0)
	v_add_f32_e32 v14, v12, v27
	ds_bpermute_b32 v12, v28, v13
	ds_bpermute_b32 v27, v28, v14
	v_cndmask_b32_e32 v28, v19, v26, vcc_lo
	v_lshlrev_b32_e32 v28, 2, v28
	s_waitcnt lgkmcnt(1)
	v_add_f32_e32 v12, v13, v12
	s_waitcnt lgkmcnt(0)
	v_add_f32_e32 v14, v14, v27
	ds_bpermute_b32 v13, v28, v12
	ds_bpermute_b32 v27, v28, v14
	s_and_saveexec_b32 s7, s0
	s_cbranch_execz .LBB31_15
; %bb.33:                               ;   in Loop: Header=BB31_17 Depth=1
	v_mul_f32_e32 v28, v11, v11
	s_waitcnt lgkmcnt(0)
	v_add_f32_e32 v14, v14, v27
	v_add_f32_e32 v12, v12, v13
	v_fmac_f32_e32 v28, v10, v10
	v_sub_f32_e32 v12, v8, v12
	v_div_scale_f32 v29, null, v28, v28, 1.0
	v_div_scale_f32 v32, vcc_lo, 1.0, v28, 1.0
	v_rcp_f32_e32 v30, v29
	v_fma_f32 v31, -v29, v30, 1.0
	v_fmac_f32_e32 v30, v31, v30
	v_mul_f32_e32 v31, v32, v30
	v_fma_f32 v33, -v29, v31, v32
	v_fmac_f32_e32 v31, v33, v30
	v_fma_f32 v29, -v29, v31, v32
	v_div_fmas_f32 v29, v29, v30, v31
	v_fma_f32 v30, v10, 0, -v11
	v_fma_f32 v10, 0, v11, v10
	v_sub_f32_e32 v11, v9, v14
	v_div_fixup_f32 v27, v29, v28, 1.0
	v_mul_f32_e32 v9, v30, v27
	v_mul_f32_e32 v10, v10, v27
	v_mul_f32_e64 v8, v9, -v11
	v_mul_f32_e32 v9, v9, v12
	v_fmac_f32_e32 v8, v12, v10
	v_fmac_f32_e32 v9, v11, v10
	;; [unrolled: 1-line block ×4, first 2 shown]
	global_store_dwordx2 v[6:7], v[8:9], off
	v_fmac_f32_e32 v18, v9, v9
	v_fma_f32 v17, v8, -v9, v17
	s_branch .LBB31_15
.LBB31_34:
	s_or_b32 exec_lo, exec_lo, s6
.LBB31_35:
	s_or_b32 exec_lo, exec_lo, s3
	v_cmp_eq_u32_e64 s0, 31, v15
	v_cmp_lt_i32_e32 vcc_lo, -1, v4
	s_and_b32 s1, s0, vcc_lo
	s_and_saveexec_b32 s3, s1
	s_cbranch_execz .LBB31_52
; %bb.36:
	v_mov_b32_e32 v5, 0
	s_load_dwordx2 s[4:5], s[4:5], 0x48
	v_add_nc_u32_e32 v0, s2, v3
	v_lshlrev_b64 v[4:5], 3, v[4:5]
	v_add_co_u32 v4, vcc_lo, s20, v4
	v_add_co_ci_u32_e64 v5, null, s21, v5, vcc_lo
	global_load_dwordx2 v[6:7], v[4:5], off
	s_waitcnt lgkmcnt(0)
	v_mul_f64 v[8:9], s[4:5], s[4:5]
	s_waitcnt vmcnt(0)
	v_sub_f32_e32 v6, v6, v18
	v_sub_f32_e32 v7, v7, v17
	v_cvt_f64_f32_e32 v[10:11], v6
	v_cmp_eq_f32_e64 s1, 0, v7
	v_cmp_ge_f64_e32 vcc_lo, v[8:9], v[10:11]
	s_and_b32 s2, vcc_lo, s1
	s_and_saveexec_b32 s1, s2
	s_cbranch_execz .LBB31_41
; %bb.37:
	s_mov_b32 s4, exec_lo
	s_brev_b32 s2, -2
.LBB31_38:                              ; =>This Inner Loop Header: Depth=1
	s_ff1_i32_b32 s5, s4
	v_readlane_b32 s6, v0, s5
	s_lshl_b32 s5, 1, s5
	s_andn2_b32 s4, s4, s5
	s_min_i32 s2, s2, s6
	s_cmp_lg_u32 s4, 0
	s_cbranch_scc1 .LBB31_38
; %bb.39:
	v_mbcnt_lo_u32_b32 v3, exec_lo, 0
	s_mov_b32 s4, exec_lo
	v_cmpx_eq_u32_e32 0, v3
	s_xor_b32 s4, exec_lo, s4
	s_cbranch_execz .LBB31_41
; %bb.40:
	v_mov_b32_e32 v3, 0
	v_mov_b32_e32 v8, s2
	global_atomic_smin v3, v8, s[14:15]
.LBB31_41:
	s_or_b32 exec_lo, exec_lo, s1
	v_cmp_gt_f32_e32 vcc_lo, 0, v6
                                        ; implicit-def: $vgpr8
	s_mov_b32 s1, exec_lo
	v_cndmask_b32_e64 v3, v6, -v6, vcc_lo
	v_cmp_gt_f32_e32 vcc_lo, 0, v7
	v_cndmask_b32_e64 v6, v7, -v7, vcc_lo
	v_cmpx_ngt_f32_e32 v3, v6
	s_xor_b32 s2, exec_lo, s1
	s_cbranch_execz .LBB31_45
; %bb.42:
	v_mov_b32_e32 v8, 0
	s_mov_b32 s4, exec_lo
	v_cmpx_neq_f32_e32 0, v7
	s_cbranch_execz .LBB31_44
; %bb.43:
	v_div_scale_f32 v7, null, v6, v6, v3
	v_div_scale_f32 v10, vcc_lo, v3, v6, v3
	v_rcp_f32_e32 v8, v7
	v_fma_f32 v9, -v7, v8, 1.0
	v_fmac_f32_e32 v8, v9, v8
	v_mul_f32_e32 v9, v10, v8
	v_fma_f32 v11, -v7, v9, v10
	v_fmac_f32_e32 v9, v11, v8
	v_fma_f32 v7, -v7, v9, v10
	v_div_fmas_f32 v7, v7, v8, v9
	v_div_fixup_f32 v3, v7, v6, v3
	v_fma_f32 v3, v3, v3, 1.0
	v_mul_f32_e32 v7, 0x4f800000, v3
	v_cmp_gt_f32_e32 vcc_lo, 0xf800000, v3
	v_cndmask_b32_e32 v3, v3, v7, vcc_lo
	v_sqrt_f32_e32 v7, v3
	v_add_nc_u32_e32 v8, -1, v7
	v_add_nc_u32_e32 v9, 1, v7
	v_fma_f32 v10, -v8, v7, v3
	v_fma_f32 v11, -v9, v7, v3
	v_cmp_ge_f32_e64 s1, 0, v10
	v_cndmask_b32_e64 v7, v7, v8, s1
	v_cmp_lt_f32_e64 s1, 0, v11
	v_cndmask_b32_e64 v7, v7, v9, s1
	v_mul_f32_e32 v8, 0x37800000, v7
	v_cndmask_b32_e32 v7, v7, v8, vcc_lo
	v_cmp_class_f32_e64 vcc_lo, v3, 0x260
	v_cndmask_b32_e32 v3, v7, v3, vcc_lo
	v_mul_f32_e32 v8, v6, v3
.LBB31_44:
	s_or_b32 exec_lo, exec_lo, s4
                                        ; implicit-def: $vgpr3
                                        ; implicit-def: $vgpr6
.LBB31_45:
	s_andn2_saveexec_b32 s2, s2
	s_cbranch_execz .LBB31_47
; %bb.46:
	v_div_scale_f32 v7, null, v3, v3, v6
	v_div_scale_f32 v10, vcc_lo, v6, v3, v6
	v_rcp_f32_e32 v8, v7
	v_fma_f32 v9, -v7, v8, 1.0
	v_fmac_f32_e32 v8, v9, v8
	v_mul_f32_e32 v9, v10, v8
	v_fma_f32 v11, -v7, v9, v10
	v_fmac_f32_e32 v9, v11, v8
	v_fma_f32 v7, -v7, v9, v10
	v_div_fmas_f32 v7, v7, v8, v9
	v_div_fixup_f32 v6, v7, v3, v6
	v_fma_f32 v6, v6, v6, 1.0
	v_mul_f32_e32 v7, 0x4f800000, v6
	v_cmp_gt_f32_e32 vcc_lo, 0xf800000, v6
	v_cndmask_b32_e32 v6, v6, v7, vcc_lo
	v_sqrt_f32_e32 v7, v6
	v_add_nc_u32_e32 v8, -1, v7
	v_add_nc_u32_e32 v9, 1, v7
	v_fma_f32 v10, -v8, v7, v6
	v_fma_f32 v11, -v9, v7, v6
	v_cmp_ge_f32_e64 s1, 0, v10
	v_cndmask_b32_e64 v7, v7, v8, s1
	v_cmp_lt_f32_e64 s1, 0, v11
	v_cndmask_b32_e64 v7, v7, v9, s1
	v_mul_f32_e32 v8, 0x37800000, v7
	v_cndmask_b32_e32 v7, v7, v8, vcc_lo
	v_cmp_class_f32_e64 vcc_lo, v6, 0x260
	v_cndmask_b32_e32 v6, v7, v6, vcc_lo
	v_mul_f32_e32 v8, v3, v6
.LBB31_47:
	s_or_b32 exec_lo, exec_lo, s2
	v_mul_f32_e32 v3, 0x4f800000, v8
	v_cmp_gt_f32_e32 vcc_lo, 0xf800000, v8
	v_cndmask_b32_e32 v3, v8, v3, vcc_lo
	v_sqrt_f32_e32 v6, v3
	v_add_nc_u32_e32 v7, -1, v6
	v_add_nc_u32_e32 v9, 1, v6
	v_fma_f32 v10, -v7, v6, v3
	v_fma_f32 v11, -v9, v6, v3
	v_cmp_ge_f32_e64 s1, 0, v10
	v_cndmask_b32_e64 v6, v6, v7, s1
	v_cmp_lt_f32_e64 s1, 0, v11
	v_cndmask_b32_e64 v6, v6, v9, s1
	v_mul_f32_e32 v7, 0x37800000, v6
	v_cndmask_b32_e32 v6, v6, v7, vcc_lo
	v_cmp_class_f32_e64 vcc_lo, v3, 0x260
	v_mov_b32_e32 v7, 0
	v_cndmask_b32_e32 v6, v6, v3, vcc_lo
	v_cmp_eq_f32_e32 vcc_lo, 0, v8
	global_store_dwordx2 v[4:5], v[6:7], off
	s_and_b32 exec_lo, exec_lo, vcc_lo
	s_cbranch_execz .LBB31_52
; %bb.48:
	s_mov_b32 s2, exec_lo
	s_brev_b32 s1, -2
.LBB31_49:                              ; =>This Inner Loop Header: Depth=1
	s_ff1_i32_b32 s4, s2
	v_readlane_b32 s5, v0, s4
	s_lshl_b32 s4, 1, s4
	s_andn2_b32 s2, s2, s4
	s_min_i32 s1, s1, s5
	s_cmp_lg_u32 s2, 0
	s_cbranch_scc1 .LBB31_49
; %bb.50:
	v_mbcnt_lo_u32_b32 v0, exec_lo, 0
	s_mov_b32 s2, exec_lo
	v_cmpx_eq_u32_e32 0, v0
	s_xor_b32 s2, exec_lo, s2
	s_cbranch_execz .LBB31_52
; %bb.51:
	v_mov_b32_e32 v0, 0
	v_mov_b32_e32 v3, s1
	global_atomic_smin v0, v3, s[12:13]
.LBB31_52:
	s_or_b32 exec_lo, exec_lo, s3
	s_and_b32 exec_lo, exec_lo, s0
	s_cbranch_execz .LBB31_54
; %bb.53:
	v_add_co_u32 v0, vcc_lo, s8, v1
	v_add_co_ci_u32_e64 v1, null, s9, v2, vcc_lo
	v_mov_b32_e32 v2, 1
	s_waitcnt lgkmcnt(0)
	s_waitcnt_vscnt null, 0x0
	global_store_dword v[0:1], v2, off
.LBB31_54:
	s_endpgm
	.section	.rodata,"a",@progbits
	.p2align	6, 0x0
	.amdhsa_kernel _ZN9rocsparseL18csric0_hash_kernelILj256ELj32ELj16E21rocsparse_complex_numIfEEEviPKiS4_PT2_S4_PiS4_S7_S7_d21rocsparse_index_base_
		.amdhsa_group_segment_fixed_size 32768
		.amdhsa_private_segment_fixed_size 0
		.amdhsa_kernarg_size 84
		.amdhsa_user_sgpr_count 6
		.amdhsa_user_sgpr_private_segment_buffer 1
		.amdhsa_user_sgpr_dispatch_ptr 0
		.amdhsa_user_sgpr_queue_ptr 0
		.amdhsa_user_sgpr_kernarg_segment_ptr 1
		.amdhsa_user_sgpr_dispatch_id 0
		.amdhsa_user_sgpr_flat_scratch_init 0
		.amdhsa_user_sgpr_private_segment_size 0
		.amdhsa_wavefront_size32 1
		.amdhsa_uses_dynamic_stack 0
		.amdhsa_system_sgpr_private_segment_wavefront_offset 0
		.amdhsa_system_sgpr_workgroup_id_x 1
		.amdhsa_system_sgpr_workgroup_id_y 0
		.amdhsa_system_sgpr_workgroup_id_z 0
		.amdhsa_system_sgpr_workgroup_info 0
		.amdhsa_system_vgpr_workitem_id 0
		.amdhsa_next_free_vgpr 113
		.amdhsa_next_free_sgpr 30
		.amdhsa_reserve_vcc 1
		.amdhsa_reserve_flat_scratch 0
		.amdhsa_float_round_mode_32 0
		.amdhsa_float_round_mode_16_64 0
		.amdhsa_float_denorm_mode_32 3
		.amdhsa_float_denorm_mode_16_64 3
		.amdhsa_dx10_clamp 1
		.amdhsa_ieee_mode 1
		.amdhsa_fp16_overflow 0
		.amdhsa_workgroup_processor_mode 1
		.amdhsa_memory_ordered 1
		.amdhsa_forward_progress 1
		.amdhsa_shared_vgpr_count 0
		.amdhsa_exception_fp_ieee_invalid_op 0
		.amdhsa_exception_fp_denorm_src 0
		.amdhsa_exception_fp_ieee_div_zero 0
		.amdhsa_exception_fp_ieee_overflow 0
		.amdhsa_exception_fp_ieee_underflow 0
		.amdhsa_exception_fp_ieee_inexact 0
		.amdhsa_exception_int_div_zero 0
	.end_amdhsa_kernel
	.section	.text._ZN9rocsparseL18csric0_hash_kernelILj256ELj32ELj16E21rocsparse_complex_numIfEEEviPKiS4_PT2_S4_PiS4_S7_S7_d21rocsparse_index_base_,"axG",@progbits,_ZN9rocsparseL18csric0_hash_kernelILj256ELj32ELj16E21rocsparse_complex_numIfEEEviPKiS4_PT2_S4_PiS4_S7_S7_d21rocsparse_index_base_,comdat
.Lfunc_end31:
	.size	_ZN9rocsparseL18csric0_hash_kernelILj256ELj32ELj16E21rocsparse_complex_numIfEEEviPKiS4_PT2_S4_PiS4_S7_S7_d21rocsparse_index_base_, .Lfunc_end31-_ZN9rocsparseL18csric0_hash_kernelILj256ELj32ELj16E21rocsparse_complex_numIfEEEviPKiS4_PT2_S4_PiS4_S7_S7_d21rocsparse_index_base_
                                        ; -- End function
	.set _ZN9rocsparseL18csric0_hash_kernelILj256ELj32ELj16E21rocsparse_complex_numIfEEEviPKiS4_PT2_S4_PiS4_S7_S7_d21rocsparse_index_base_.num_vgpr, 34
	.set _ZN9rocsparseL18csric0_hash_kernelILj256ELj32ELj16E21rocsparse_complex_numIfEEEviPKiS4_PT2_S4_PiS4_S7_S7_d21rocsparse_index_base_.num_agpr, 0
	.set _ZN9rocsparseL18csric0_hash_kernelILj256ELj32ELj16E21rocsparse_complex_numIfEEEviPKiS4_PT2_S4_PiS4_S7_S7_d21rocsparse_index_base_.numbered_sgpr, 30
	.set _ZN9rocsparseL18csric0_hash_kernelILj256ELj32ELj16E21rocsparse_complex_numIfEEEviPKiS4_PT2_S4_PiS4_S7_S7_d21rocsparse_index_base_.num_named_barrier, 0
	.set _ZN9rocsparseL18csric0_hash_kernelILj256ELj32ELj16E21rocsparse_complex_numIfEEEviPKiS4_PT2_S4_PiS4_S7_S7_d21rocsparse_index_base_.private_seg_size, 0
	.set _ZN9rocsparseL18csric0_hash_kernelILj256ELj32ELj16E21rocsparse_complex_numIfEEEviPKiS4_PT2_S4_PiS4_S7_S7_d21rocsparse_index_base_.uses_vcc, 1
	.set _ZN9rocsparseL18csric0_hash_kernelILj256ELj32ELj16E21rocsparse_complex_numIfEEEviPKiS4_PT2_S4_PiS4_S7_S7_d21rocsparse_index_base_.uses_flat_scratch, 0
	.set _ZN9rocsparseL18csric0_hash_kernelILj256ELj32ELj16E21rocsparse_complex_numIfEEEviPKiS4_PT2_S4_PiS4_S7_S7_d21rocsparse_index_base_.has_dyn_sized_stack, 0
	.set _ZN9rocsparseL18csric0_hash_kernelILj256ELj32ELj16E21rocsparse_complex_numIfEEEviPKiS4_PT2_S4_PiS4_S7_S7_d21rocsparse_index_base_.has_recursion, 0
	.set _ZN9rocsparseL18csric0_hash_kernelILj256ELj32ELj16E21rocsparse_complex_numIfEEEviPKiS4_PT2_S4_PiS4_S7_S7_d21rocsparse_index_base_.has_indirect_call, 0
	.section	.AMDGPU.csdata,"",@progbits
; Kernel info:
; codeLenInByte = 2800
; TotalNumSgprs: 32
; NumVgprs: 34
; ScratchSize: 0
; MemoryBound: 0
; FloatMode: 240
; IeeeMode: 1
; LDSByteSize: 32768 bytes/workgroup (compile time only)
; SGPRBlocks: 0
; VGPRBlocks: 14
; NumSGPRsForWavesPerEU: 32
; NumVGPRsForWavesPerEU: 113
; Occupancy: 8
; WaveLimiterHint : 1
; COMPUTE_PGM_RSRC2:SCRATCH_EN: 0
; COMPUTE_PGM_RSRC2:USER_SGPR: 6
; COMPUTE_PGM_RSRC2:TRAP_HANDLER: 0
; COMPUTE_PGM_RSRC2:TGID_X_EN: 1
; COMPUTE_PGM_RSRC2:TGID_Y_EN: 0
; COMPUTE_PGM_RSRC2:TGID_Z_EN: 0
; COMPUTE_PGM_RSRC2:TIDIG_COMP_CNT: 0
	.section	.text._ZN9rocsparseL23csric0_binsearch_kernelILj256ELj32ELb0E21rocsparse_complex_numIfEEEviPKiS4_PT2_S4_PiS4_S7_S7_d21rocsparse_index_base_,"axG",@progbits,_ZN9rocsparseL23csric0_binsearch_kernelILj256ELj32ELb0E21rocsparse_complex_numIfEEEviPKiS4_PT2_S4_PiS4_S7_S7_d21rocsparse_index_base_,comdat
	.globl	_ZN9rocsparseL23csric0_binsearch_kernelILj256ELj32ELb0E21rocsparse_complex_numIfEEEviPKiS4_PT2_S4_PiS4_S7_S7_d21rocsparse_index_base_ ; -- Begin function _ZN9rocsparseL23csric0_binsearch_kernelILj256ELj32ELb0E21rocsparse_complex_numIfEEEviPKiS4_PT2_S4_PiS4_S7_S7_d21rocsparse_index_base_
	.p2align	8
	.type	_ZN9rocsparseL23csric0_binsearch_kernelILj256ELj32ELb0E21rocsparse_complex_numIfEEEviPKiS4_PT2_S4_PiS4_S7_S7_d21rocsparse_index_base_,@function
_ZN9rocsparseL23csric0_binsearch_kernelILj256ELj32ELb0E21rocsparse_complex_numIfEEEviPKiS4_PT2_S4_PiS4_S7_S7_d21rocsparse_index_base_: ; @_ZN9rocsparseL23csric0_binsearch_kernelILj256ELj32ELb0E21rocsparse_complex_numIfEEEviPKiS4_PT2_S4_PiS4_S7_S7_d21rocsparse_index_base_
; %bb.0:
	s_load_dword s0, s[4:5], 0x0
	v_lshrrev_b32_e32 v1, 5, v0
	s_lshl_b32 s1, s6, 3
	v_and_or_b32 v1, 0x7fffff8, s1, v1
	s_waitcnt lgkmcnt(0)
	v_cmp_gt_i32_e32 vcc_lo, s0, v1
	s_and_saveexec_b32 s0, vcc_lo
	s_cbranch_execz .LBB32_54
; %bb.1:
	s_load_dwordx8 s[8:15], s[4:5], 0x18
	v_lshlrev_b32_e32 v1, 2, v1
	v_and_b32_e32 v17, 31, v0
	v_mov_b32_e32 v0, 0
	v_mov_b32_e32 v18, 0
	s_mov_b32 s21, exec_lo
	s_waitcnt lgkmcnt(0)
	global_load_dword v3, v1, s[14:15]
	s_load_dwordx2 s[14:15], s[4:5], 0x8
	s_waitcnt vmcnt(0)
	v_ashrrev_i32_e32 v4, 31, v3
	v_lshlrev_b64 v[1:2], 2, v[3:4]
	s_waitcnt lgkmcnt(0)
	v_add_co_u32 v5, vcc_lo, s14, v1
	v_add_co_ci_u32_e64 v6, null, s15, v2, vcc_lo
	v_add_co_u32 v7, vcc_lo, s10, v1
	v_add_co_ci_u32_e64 v8, null, s11, v2, vcc_lo
	global_load_dword v9, v[5:6], off
	global_load_dword v4, v[7:8], off
	s_clause 0x2
	s_load_dword s20, s[4:5], 0x50
	s_load_dwordx4 s[16:19], s[4:5], 0x38
	s_load_dwordx2 s[6:7], s[4:5], 0x48
	s_waitcnt vmcnt(1) lgkmcnt(0)
	v_subrev_nc_u32_e32 v19, s20, v9
	s_waitcnt vmcnt(0)
	v_cmpx_lt_i32_e64 v19, v4
	s_cbranch_execz .LBB32_35
; %bb.2:
	global_load_dword v6, v[5:6], off offset:4
	s_load_dwordx2 s[4:5], s[4:5], 0x10
	v_add_nc_u32_e32 v20, -1, v4
	v_cmp_eq_u32_e64 s0, 0, v17
	v_subrev_nc_u32_e32 v21, s20, v17
	v_cmp_eq_u32_e64 s1, 31, v17
	v_mov_b32_e32 v22, 0
	v_mbcnt_lo_u32_b32 v23, -1, 0
	v_mov_b32_e32 v5, v19
	v_mov_b32_e32 v0, 0
	;; [unrolled: 1-line block ×3, first 2 shown]
	s_mov_b32 s22, 0
	s_waitcnt vmcnt(0)
	v_xad_u32 v24, s20, -1, v6
	s_branch .LBB32_5
.LBB32_3:                               ;   in Loop: Header=BB32_5 Depth=1
	s_or_b32 exec_lo, exec_lo, s23
.LBB32_4:                               ;   in Loop: Header=BB32_5 Depth=1
	s_or_b32 exec_lo, exec_lo, s2
	v_add_nc_u32_e32 v5, 1, v5
	v_cmp_ge_i32_e32 vcc_lo, v5, v4
	s_or_b32 s2, s3, vcc_lo
	s_and_b32 s2, exec_lo, s2
	s_or_b32 s22, s2, s22
	s_andn2_b32 exec_lo, exec_lo, s22
	s_cbranch_execz .LBB32_34
.LBB32_5:                               ; =>This Loop Header: Depth=1
                                        ;     Child Loop BB32_7 Depth 2
                                        ;     Child Loop BB32_11 Depth 2
	;; [unrolled: 1-line block ×4, first 2 shown]
                                        ;       Child Loop BB32_27 Depth 3
	v_ashrrev_i32_e32 v6, 31, v5
	s_mov_b32 s2, exec_lo
	v_lshlrev_b64 v[7:8], 2, v[5:6]
	v_lshlrev_b64 v[9:10], 3, v[5:6]
	s_waitcnt lgkmcnt(0)
	v_add_co_u32 v7, vcc_lo, s4, v7
	v_add_co_ci_u32_e64 v8, null, s5, v8, vcc_lo
	v_add_co_u32 v6, vcc_lo, s8, v9
	global_load_dword v14, v[7:8], off
	s_waitcnt vmcnt(0)
	v_subrev_nc_u32_e32 v7, s20, v14
	v_ashrrev_i32_e32 v8, 31, v7
	v_lshlrev_b64 v[11:12], 2, v[7:8]
	v_add_co_ci_u32_e64 v7, null, s9, v10, vcc_lo
	v_add_co_u32 v15, vcc_lo, s14, v11
	v_add_co_ci_u32_e64 v16, null, s15, v12, vcc_lo
	v_add_co_u32 v25, vcc_lo, s10, v11
	;; [unrolled: 2-line block ×3, first 2 shown]
	v_add_co_ci_u32_e64 v11, null, s13, v12, vcc_lo
	global_load_dwordx2 v[8:9], v[6:7], off
	global_load_dword v15, v[15:16], off
	global_load_dword v12, v[25:26], off
	global_load_dword v13, v[10:11], off glc dlc
	s_waitcnt vmcnt(0)
	v_cmpx_eq_u32_e32 0, v13
	s_cbranch_execz .LBB32_8
; %bb.6:                                ;   in Loop: Header=BB32_5 Depth=1
	s_mov_b32 s3, 0
.LBB32_7:                               ;   Parent Loop BB32_5 Depth=1
                                        ; =>  This Inner Loop Header: Depth=2
	global_load_dword v13, v[10:11], off glc dlc
	s_waitcnt vmcnt(0)
	v_cmp_ne_u32_e32 vcc_lo, 0, v13
	s_or_b32 s3, vcc_lo, s3
	s_andn2_b32 exec_lo, exec_lo, s3
	s_cbranch_execnz .LBB32_7
.LBB32_8:                               ;   in Loop: Header=BB32_5 Depth=1
	s_or_b32 exec_lo, exec_lo, s2
	v_cmp_eq_u32_e32 vcc_lo, -1, v12
	buffer_gl1_inv
	buffer_gl0_inv
	v_cndmask_b32_e32 v12, v12, v20, vcc_lo
	v_ashrrev_i32_e32 v13, 31, v12
	v_lshlrev_b64 v[10:11], 3, v[12:13]
	v_add_co_u32 v10, vcc_lo, s8, v10
	v_add_co_ci_u32_e64 v11, null, s9, v11, vcc_lo
	global_load_dwordx2 v[10:11], v[10:11], off
	s_waitcnt vmcnt(0)
	v_cmp_neq_f32_e64 s2, 0, v10
	v_cmp_neq_f32_e64 s3, 0, v11
	v_cmp_eq_f32_e32 vcc_lo, 0, v11
	s_or_b32 s2, s2, s3
	s_xor_b32 s3, s2, -1
	s_and_saveexec_b32 s2, s3
	s_xor_b32 s23, exec_lo, s2
	s_cbranch_execz .LBB32_15
; %bb.9:                                ;   in Loop: Header=BB32_5 Depth=1
	s_and_saveexec_b32 s24, s0
	s_cbranch_execz .LBB32_14
; %bb.10:                               ;   in Loop: Header=BB32_5 Depth=1
	s_mov_b32 s2, exec_lo
	s_brev_b32 s25, -2
.LBB32_11:                              ;   Parent Loop BB32_5 Depth=1
                                        ; =>  This Inner Loop Header: Depth=2
	s_ff1_i32_b32 s26, s2
	v_readlane_b32 s27, v14, s26
	s_lshl_b32 s26, 1, s26
	s_andn2_b32 s2, s2, s26
	s_min_i32 s25, s25, s27
	s_cmp_lg_u32 s2, 0
	s_cbranch_scc1 .LBB32_11
; %bb.12:                               ;   in Loop: Header=BB32_5 Depth=1
	v_mbcnt_lo_u32_b32 v6, exec_lo, 0
	s_mov_b32 s26, exec_lo
	v_cmpx_eq_u32_e32 0, v6
	s_xor_b32 s26, exec_lo, s26
	s_cbranch_execz .LBB32_14
; %bb.13:                               ;   in Loop: Header=BB32_5 Depth=1
	v_mov_b32_e32 v6, s25
	global_atomic_smin v22, v6, s[16:17]
.LBB32_14:                              ;   in Loop: Header=BB32_5 Depth=1
	s_or_b32 exec_lo, exec_lo, s24
                                        ; implicit-def: $vgpr10_vgpr11
                                        ; implicit-def: $vgpr8_vgpr9
                                        ; implicit-def: $vgpr6_vgpr7
                                        ; implicit-def: $vgpr15
                                        ; implicit-def: $vgpr12
                                        ; implicit-def: $vgpr14
.LBB32_15:                              ;   in Loop: Header=BB32_5 Depth=1
	s_andn2_saveexec_b32 s2, s23
	s_cbranch_execz .LBB32_4
; %bb.16:                               ;   in Loop: Header=BB32_5 Depth=1
	s_and_saveexec_b32 s23, vcc_lo
	s_cbranch_execz .LBB32_22
; %bb.17:                               ;   in Loop: Header=BB32_5 Depth=1
	v_cvt_f64_f32_e32 v[25:26], v10
	v_cmp_ge_f64_e32 vcc_lo, s[6:7], v[25:26]
	s_and_b32 s24, s0, vcc_lo
	s_and_b32 exec_lo, exec_lo, s24
	s_cbranch_execz .LBB32_22
; %bb.18:                               ;   in Loop: Header=BB32_5 Depth=1
	s_mov_b32 s25, exec_lo
	s_brev_b32 s24, -2
.LBB32_19:                              ;   Parent Loop BB32_5 Depth=1
                                        ; =>  This Inner Loop Header: Depth=2
	s_ff1_i32_b32 s26, s25
	v_readlane_b32 s27, v14, s26
	s_lshl_b32 s26, 1, s26
	s_andn2_b32 s25, s25, s26
	s_min_i32 s24, s24, s27
	s_cmp_lg_u32 s25, 0
	s_cbranch_scc1 .LBB32_19
; %bb.20:                               ;   in Loop: Header=BB32_5 Depth=1
	v_mbcnt_lo_u32_b32 v13, exec_lo, 0
	s_mov_b32 s25, exec_lo
	v_cmpx_eq_u32_e32 0, v13
	s_xor_b32 s25, exec_lo, s25
	s_cbranch_execz .LBB32_22
; %bb.21:                               ;   in Loop: Header=BB32_5 Depth=1
	v_mov_b32_e32 v13, s24
	global_atomic_smin v22, v13, s[18:19]
.LBB32_22:                              ;   in Loop: Header=BB32_5 Depth=1
	s_or_b32 exec_lo, exec_lo, s23
	v_add_nc_u32_e32 v13, v21, v15
	v_mov_b32_e32 v25, 0
	v_mov_b32_e32 v26, 0
	s_mov_b32 s23, exec_lo
	v_cmpx_lt_i32_e64 v13, v12
	s_cbranch_execz .LBB32_32
; %bb.23:                               ;   in Loop: Header=BB32_5 Depth=1
	v_mov_b32_e32 v25, 0
	v_mov_b32_e32 v27, v19
	;; [unrolled: 1-line block ×3, first 2 shown]
	s_mov_b32 s24, 0
	s_branch .LBB32_25
.LBB32_24:                              ;   in Loop: Header=BB32_25 Depth=2
	s_or_b32 exec_lo, exec_lo, s25
	v_add_nc_u32_e32 v13, 32, v13
	v_cmp_ge_i32_e32 vcc_lo, v13, v12
	s_or_b32 s24, vcc_lo, s24
	s_andn2_b32 exec_lo, exec_lo, s24
	s_cbranch_execz .LBB32_31
.LBB32_25:                              ;   Parent Loop BB32_5 Depth=1
                                        ; =>  This Loop Header: Depth=2
                                        ;       Child Loop BB32_27 Depth 3
	v_add_nc_u32_e32 v14, v27, v24
	s_mov_b32 s25, exec_lo
	v_ashrrev_i32_e32 v15, 1, v14
	v_ashrrev_i32_e32 v14, 31, v13
	;; [unrolled: 1-line block ×3, first 2 shown]
	v_lshlrev_b64 v[28:29], 2, v[13:14]
	v_lshlrev_b64 v[30:31], 2, v[15:16]
	v_add_co_u32 v28, vcc_lo, s4, v28
	v_add_co_ci_u32_e64 v29, null, s5, v29, vcc_lo
	v_add_co_u32 v30, vcc_lo, s4, v30
	v_add_co_ci_u32_e64 v31, null, s5, v31, vcc_lo
	s_clause 0x1
	global_load_dword v28, v[28:29], off
	global_load_dword v29, v[30:31], off
	v_cmpx_lt_i32_e64 v27, v24
	s_cbranch_execz .LBB32_29
; %bb.26:                               ;   in Loop: Header=BB32_25 Depth=2
	v_mov_b32_e32 v30, v24
	s_mov_b32 s26, 0
	.p2align	6
.LBB32_27:                              ;   Parent Loop BB32_5 Depth=1
                                        ;     Parent Loop BB32_25 Depth=2
                                        ; =>    This Inner Loop Header: Depth=3
	v_add_nc_u32_e32 v16, 1, v15
	s_waitcnt vmcnt(0)
	v_cmp_lt_i32_e32 vcc_lo, v29, v28
	v_cndmask_b32_e32 v30, v15, v30, vcc_lo
	v_cndmask_b32_e32 v27, v27, v16, vcc_lo
	v_add_nc_u32_e32 v15, v30, v27
	v_ashrrev_i32_e32 v15, 1, v15
	v_ashrrev_i32_e32 v16, 31, v15
	v_lshlrev_b64 v[31:32], 2, v[15:16]
	v_add_co_u32 v31, vcc_lo, s4, v31
	v_add_co_ci_u32_e64 v32, null, s5, v32, vcc_lo
	v_cmp_ge_i32_e32 vcc_lo, v27, v30
	global_load_dword v29, v[31:32], off
	s_or_b32 s26, vcc_lo, s26
	s_andn2_b32 exec_lo, exec_lo, s26
	s_cbranch_execnz .LBB32_27
; %bb.28:                               ;   in Loop: Header=BB32_25 Depth=2
	s_or_b32 exec_lo, exec_lo, s26
.LBB32_29:                              ;   in Loop: Header=BB32_25 Depth=2
	s_or_b32 exec_lo, exec_lo, s25
	s_mov_b32 s25, exec_lo
	s_waitcnt vmcnt(0)
	v_cmpx_eq_u32_e64 v29, v28
	s_cbranch_execz .LBB32_24
; %bb.30:                               ;   in Loop: Header=BB32_25 Depth=2
	v_lshlrev_b64 v[28:29], 3, v[13:14]
	v_lshlrev_b64 v[14:15], 3, v[15:16]
	v_add_co_u32 v28, vcc_lo, s8, v28
	v_add_co_ci_u32_e64 v29, null, s9, v29, vcc_lo
	v_add_co_u32 v14, vcc_lo, s8, v14
	v_add_co_ci_u32_e64 v15, null, s9, v15, vcc_lo
	s_clause 0x1
	global_load_dwordx2 v[28:29], v[28:29], off
	global_load_dwordx2 v[14:15], v[14:15], off
	s_waitcnt vmcnt(0)
	v_fmac_f32_e32 v26, v28, v14
	v_fmac_f32_e32 v25, v29, v14
	;; [unrolled: 1-line block ×3, first 2 shown]
	v_fma_f32 v25, v28, -v15, v25
	s_branch .LBB32_24
.LBB32_31:                              ;   in Loop: Header=BB32_5 Depth=1
	s_or_b32 exec_lo, exec_lo, s24
.LBB32_32:                              ;   in Loop: Header=BB32_5 Depth=1
	s_or_b32 exec_lo, exec_lo, s23
	v_xor_b32_e32 v12, 16, v23
	v_xor_b32_e32 v14, 8, v23
	;; [unrolled: 1-line block ×3, first 2 shown]
	v_cmp_gt_i32_e32 vcc_lo, 32, v12
	v_cndmask_b32_e32 v12, v23, v12, vcc_lo
	v_cmp_gt_i32_e32 vcc_lo, 32, v14
	v_lshlrev_b32_e32 v12, 2, v12
	v_cndmask_b32_e32 v14, v23, v14, vcc_lo
	v_cmp_gt_i32_e32 vcc_lo, 32, v16
	ds_bpermute_b32 v13, v12, v26
	ds_bpermute_b32 v12, v12, v25
	v_lshlrev_b32_e32 v14, 2, v14
	v_cndmask_b32_e32 v16, v23, v16, vcc_lo
	v_lshlrev_b32_e32 v16, 2, v16
	s_waitcnt lgkmcnt(1)
	v_add_f32_e32 v13, v26, v13
	s_waitcnt lgkmcnt(0)
	v_add_f32_e32 v12, v25, v12
	ds_bpermute_b32 v15, v14, v13
	ds_bpermute_b32 v14, v14, v12
	s_waitcnt lgkmcnt(1)
	v_add_f32_e32 v13, v13, v15
	s_waitcnt lgkmcnt(0)
	v_add_f32_e32 v12, v12, v14
	ds_bpermute_b32 v14, v16, v13
	ds_bpermute_b32 v15, v16, v12
	v_xor_b32_e32 v16, 2, v23
	v_cmp_gt_i32_e32 vcc_lo, 32, v16
	v_cndmask_b32_e32 v16, v23, v16, vcc_lo
	v_lshlrev_b32_e32 v16, 2, v16
	s_waitcnt lgkmcnt(1)
	v_add_f32_e32 v13, v13, v14
	s_waitcnt lgkmcnt(0)
	v_add_f32_e32 v14, v12, v15
	ds_bpermute_b32 v12, v16, v13
	ds_bpermute_b32 v15, v16, v14
	v_xor_b32_e32 v16, 1, v23
	v_cmp_gt_i32_e32 vcc_lo, 32, v16
	v_cndmask_b32_e32 v16, v23, v16, vcc_lo
	v_lshlrev_b32_e32 v16, 2, v16
	s_waitcnt lgkmcnt(1)
	v_add_f32_e32 v12, v13, v12
	s_waitcnt lgkmcnt(0)
	v_add_f32_e32 v14, v14, v15
	ds_bpermute_b32 v13, v16, v12
	ds_bpermute_b32 v15, v16, v14
	s_and_saveexec_b32 s23, s1
	s_cbranch_execz .LBB32_3
; %bb.33:                               ;   in Loop: Header=BB32_5 Depth=1
	v_mul_f32_e32 v16, v11, v11
	s_waitcnt lgkmcnt(0)
	v_add_f32_e32 v14, v14, v15
	v_add_f32_e32 v12, v12, v13
	v_fmac_f32_e32 v16, v10, v10
	v_sub_f32_e32 v12, v8, v12
	v_div_scale_f32 v25, null, v16, v16, 1.0
	v_div_scale_f32 v28, vcc_lo, 1.0, v16, 1.0
	v_rcp_f32_e32 v26, v25
	v_fma_f32 v27, -v25, v26, 1.0
	v_fmac_f32_e32 v26, v27, v26
	v_mul_f32_e32 v27, v28, v26
	v_fma_f32 v29, -v25, v27, v28
	v_fmac_f32_e32 v27, v29, v26
	v_fma_f32 v25, -v25, v27, v28
	v_div_fmas_f32 v25, v25, v26, v27
	v_fma_f32 v26, v10, 0, -v11
	v_fma_f32 v10, 0, v11, v10
	v_sub_f32_e32 v11, v9, v14
	v_div_fixup_f32 v15, v25, v16, 1.0
	v_mul_f32_e32 v9, v26, v15
	v_mul_f32_e32 v10, v10, v15
	v_mul_f32_e64 v8, v9, -v11
	v_mul_f32_e32 v9, v9, v12
	v_fmac_f32_e32 v8, v12, v10
	v_fmac_f32_e32 v9, v11, v10
	;; [unrolled: 1-line block ×4, first 2 shown]
	global_store_dwordx2 v[6:7], v[8:9], off
	v_fmac_f32_e32 v18, v9, v9
	v_fma_f32 v0, v8, -v9, v0
	s_branch .LBB32_3
.LBB32_34:
	s_or_b32 exec_lo, exec_lo, s22
.LBB32_35:
	s_or_b32 exec_lo, exec_lo, s21
	v_cmp_eq_u32_e64 s0, 31, v17
	v_cmp_lt_i32_e32 vcc_lo, -1, v4
	s_and_b32 s1, s0, vcc_lo
	s_and_saveexec_b32 s3, s1
	s_cbranch_execz .LBB32_52
; %bb.36:
	v_mov_b32_e32 v5, 0
	v_mul_f64 v[8:9], s[6:7], s[6:7]
	v_lshlrev_b64 v[4:5], 3, v[4:5]
	v_add_co_u32 v4, vcc_lo, s8, v4
	v_add_co_ci_u32_e64 v5, null, s9, v5, vcc_lo
	global_load_dwordx2 v[6:7], v[4:5], off
	s_waitcnt vmcnt(0)
	v_sub_f32_e32 v6, v6, v18
	v_sub_f32_e32 v7, v7, v0
	v_add_nc_u32_e32 v0, s20, v3
	v_cvt_f64_f32_e32 v[10:11], v6
	v_cmp_eq_f32_e64 s2, 0, v7
	v_cmp_neq_f32_e32 vcc_lo, 0, v7
	v_cmp_ge_f64_e64 s1, v[8:9], v[10:11]
	s_and_b32 s1, s2, s1
	s_and_saveexec_b32 s2, s1
	s_cbranch_execz .LBB32_41
; %bb.37:
	s_mov_b32 s1, exec_lo
	s_brev_b32 s4, -2
.LBB32_38:                              ; =>This Inner Loop Header: Depth=1
	s_ff1_i32_b32 s5, s1
	v_readlane_b32 s6, v0, s5
	s_lshl_b32 s5, 1, s5
	s_andn2_b32 s1, s1, s5
	s_min_i32 s4, s4, s6
	s_cmp_lg_u32 s1, 0
	s_cbranch_scc1 .LBB32_38
; %bb.39:
	v_mbcnt_lo_u32_b32 v3, exec_lo, 0
	s_mov_b32 s5, exec_lo
	v_cmpx_eq_u32_e32 0, v3
	s_xor_b32 s5, exec_lo, s5
	s_cbranch_execz .LBB32_41
; %bb.40:
	v_mov_b32_e32 v3, 0
	v_mov_b32_e32 v8, s4
	global_atomic_smin v3, v8, s[18:19]
.LBB32_41:
	s_or_b32 exec_lo, exec_lo, s2
	v_cmp_gt_f32_e64 s1, 0, v6
	s_mov_b32 s2, exec_lo
	v_cndmask_b32_e64 v3, v6, -v6, s1
	v_cmp_gt_f32_e64 s1, 0, v7
	v_cndmask_b32_e64 v6, v7, -v7, s1
                                        ; implicit-def: $vgpr7
	v_cmpx_ngt_f32_e32 v3, v6
	s_xor_b32 s2, exec_lo, s2
	s_cbranch_execz .LBB32_45
; %bb.42:
	v_mov_b32_e32 v7, 0
	s_and_saveexec_b32 s4, vcc_lo
	s_cbranch_execz .LBB32_44
; %bb.43:
	v_div_scale_f32 v7, null, v6, v6, v3
	v_div_scale_f32 v10, vcc_lo, v3, v6, v3
	v_rcp_f32_e32 v8, v7
	v_fma_f32 v9, -v7, v8, 1.0
	v_fmac_f32_e32 v8, v9, v8
	v_mul_f32_e32 v9, v10, v8
	v_fma_f32 v11, -v7, v9, v10
	v_fmac_f32_e32 v9, v11, v8
	v_fma_f32 v7, -v7, v9, v10
	v_div_fmas_f32 v7, v7, v8, v9
	v_div_fixup_f32 v3, v7, v6, v3
	v_fma_f32 v3, v3, v3, 1.0
	v_mul_f32_e32 v7, 0x4f800000, v3
	v_cmp_gt_f32_e32 vcc_lo, 0xf800000, v3
	v_cndmask_b32_e32 v3, v3, v7, vcc_lo
	v_sqrt_f32_e32 v7, v3
	v_add_nc_u32_e32 v8, -1, v7
	v_add_nc_u32_e32 v9, 1, v7
	v_fma_f32 v10, -v8, v7, v3
	v_fma_f32 v11, -v9, v7, v3
	v_cmp_ge_f32_e64 s1, 0, v10
	v_cndmask_b32_e64 v7, v7, v8, s1
	v_cmp_lt_f32_e64 s1, 0, v11
	v_cndmask_b32_e64 v7, v7, v9, s1
	v_mul_f32_e32 v8, 0x37800000, v7
	v_cndmask_b32_e32 v7, v7, v8, vcc_lo
	v_cmp_class_f32_e64 vcc_lo, v3, 0x260
	v_cndmask_b32_e32 v3, v7, v3, vcc_lo
	v_mul_f32_e32 v7, v6, v3
.LBB32_44:
	s_or_b32 exec_lo, exec_lo, s4
                                        ; implicit-def: $vgpr3
                                        ; implicit-def: $vgpr6
.LBB32_45:
	s_andn2_saveexec_b32 s2, s2
	s_cbranch_execz .LBB32_47
; %bb.46:
	v_div_scale_f32 v7, null, v3, v3, v6
	v_div_scale_f32 v10, vcc_lo, v6, v3, v6
	v_rcp_f32_e32 v8, v7
	v_fma_f32 v9, -v7, v8, 1.0
	v_fmac_f32_e32 v8, v9, v8
	v_mul_f32_e32 v9, v10, v8
	v_fma_f32 v11, -v7, v9, v10
	v_fmac_f32_e32 v9, v11, v8
	v_fma_f32 v7, -v7, v9, v10
	v_div_fmas_f32 v7, v7, v8, v9
	v_div_fixup_f32 v6, v7, v3, v6
	v_fma_f32 v6, v6, v6, 1.0
	v_mul_f32_e32 v7, 0x4f800000, v6
	v_cmp_gt_f32_e32 vcc_lo, 0xf800000, v6
	v_cndmask_b32_e32 v6, v6, v7, vcc_lo
	v_sqrt_f32_e32 v7, v6
	v_add_nc_u32_e32 v8, -1, v7
	v_add_nc_u32_e32 v9, 1, v7
	v_fma_f32 v10, -v8, v7, v6
	v_fma_f32 v11, -v9, v7, v6
	v_cmp_ge_f32_e64 s1, 0, v10
	v_cndmask_b32_e64 v7, v7, v8, s1
	v_cmp_lt_f32_e64 s1, 0, v11
	v_cndmask_b32_e64 v7, v7, v9, s1
	v_mul_f32_e32 v8, 0x37800000, v7
	v_cndmask_b32_e32 v7, v7, v8, vcc_lo
	v_cmp_class_f32_e64 vcc_lo, v6, 0x260
	v_cndmask_b32_e32 v6, v7, v6, vcc_lo
	v_mul_f32_e32 v7, v3, v6
.LBB32_47:
	s_or_b32 exec_lo, exec_lo, s2
	v_mul_f32_e32 v3, 0x4f800000, v7
	v_cmp_gt_f32_e32 vcc_lo, 0xf800000, v7
	v_cndmask_b32_e32 v3, v7, v3, vcc_lo
	v_sqrt_f32_e32 v6, v3
	v_add_nc_u32_e32 v8, -1, v6
	v_add_nc_u32_e32 v9, 1, v6
	v_fma_f32 v10, -v8, v6, v3
	v_fma_f32 v11, -v9, v6, v3
	v_cmp_ge_f32_e64 s1, 0, v10
	v_cndmask_b32_e64 v6, v6, v8, s1
	v_cmp_lt_f32_e64 s1, 0, v11
	v_cndmask_b32_e64 v6, v6, v9, s1
	v_mov_b32_e32 v9, 0
	v_mul_f32_e32 v8, 0x37800000, v6
	v_cndmask_b32_e32 v6, v6, v8, vcc_lo
	v_cmp_class_f32_e64 vcc_lo, v3, 0x260
	v_cndmask_b32_e32 v8, v6, v3, vcc_lo
	v_cmp_eq_f32_e32 vcc_lo, 0, v7
	global_store_dwordx2 v[4:5], v[8:9], off
	s_and_b32 exec_lo, exec_lo, vcc_lo
	s_cbranch_execz .LBB32_52
; %bb.48:
	s_mov_b32 s2, exec_lo
	s_brev_b32 s1, -2
.LBB32_49:                              ; =>This Inner Loop Header: Depth=1
	s_ff1_i32_b32 s4, s2
	v_readlane_b32 s5, v0, s4
	s_lshl_b32 s4, 1, s4
	s_andn2_b32 s2, s2, s4
	s_min_i32 s1, s1, s5
	s_cmp_lg_u32 s2, 0
	s_cbranch_scc1 .LBB32_49
; %bb.50:
	v_mbcnt_lo_u32_b32 v0, exec_lo, 0
	s_mov_b32 s2, exec_lo
	v_cmpx_eq_u32_e32 0, v0
	s_xor_b32 s2, exec_lo, s2
	s_cbranch_execz .LBB32_52
; %bb.51:
	v_mov_b32_e32 v0, 0
	v_mov_b32_e32 v3, s1
	global_atomic_smin v0, v3, s[16:17]
.LBB32_52:
	s_or_b32 exec_lo, exec_lo, s3
	s_and_b32 exec_lo, exec_lo, s0
	s_cbranch_execz .LBB32_54
; %bb.53:
	v_add_co_u32 v0, vcc_lo, s12, v1
	v_add_co_ci_u32_e64 v1, null, s13, v2, vcc_lo
	v_mov_b32_e32 v2, 1
	s_waitcnt lgkmcnt(0)
	s_waitcnt_vscnt null, 0x0
	global_store_dword v[0:1], v2, off
.LBB32_54:
	s_endpgm
	.section	.rodata,"a",@progbits
	.p2align	6, 0x0
	.amdhsa_kernel _ZN9rocsparseL23csric0_binsearch_kernelILj256ELj32ELb0E21rocsparse_complex_numIfEEEviPKiS4_PT2_S4_PiS4_S7_S7_d21rocsparse_index_base_
		.amdhsa_group_segment_fixed_size 0
		.amdhsa_private_segment_fixed_size 0
		.amdhsa_kernarg_size 84
		.amdhsa_user_sgpr_count 6
		.amdhsa_user_sgpr_private_segment_buffer 1
		.amdhsa_user_sgpr_dispatch_ptr 0
		.amdhsa_user_sgpr_queue_ptr 0
		.amdhsa_user_sgpr_kernarg_segment_ptr 1
		.amdhsa_user_sgpr_dispatch_id 0
		.amdhsa_user_sgpr_flat_scratch_init 0
		.amdhsa_user_sgpr_private_segment_size 0
		.amdhsa_wavefront_size32 1
		.amdhsa_uses_dynamic_stack 0
		.amdhsa_system_sgpr_private_segment_wavefront_offset 0
		.amdhsa_system_sgpr_workgroup_id_x 1
		.amdhsa_system_sgpr_workgroup_id_y 0
		.amdhsa_system_sgpr_workgroup_id_z 0
		.amdhsa_system_sgpr_workgroup_info 0
		.amdhsa_system_vgpr_workitem_id 0
		.amdhsa_next_free_vgpr 33
		.amdhsa_next_free_sgpr 28
		.amdhsa_reserve_vcc 1
		.amdhsa_reserve_flat_scratch 0
		.amdhsa_float_round_mode_32 0
		.amdhsa_float_round_mode_16_64 0
		.amdhsa_float_denorm_mode_32 3
		.amdhsa_float_denorm_mode_16_64 3
		.amdhsa_dx10_clamp 1
		.amdhsa_ieee_mode 1
		.amdhsa_fp16_overflow 0
		.amdhsa_workgroup_processor_mode 1
		.amdhsa_memory_ordered 1
		.amdhsa_forward_progress 1
		.amdhsa_shared_vgpr_count 0
		.amdhsa_exception_fp_ieee_invalid_op 0
		.amdhsa_exception_fp_denorm_src 0
		.amdhsa_exception_fp_ieee_div_zero 0
		.amdhsa_exception_fp_ieee_overflow 0
		.amdhsa_exception_fp_ieee_underflow 0
		.amdhsa_exception_fp_ieee_inexact 0
		.amdhsa_exception_int_div_zero 0
	.end_amdhsa_kernel
	.section	.text._ZN9rocsparseL23csric0_binsearch_kernelILj256ELj32ELb0E21rocsparse_complex_numIfEEEviPKiS4_PT2_S4_PiS4_S7_S7_d21rocsparse_index_base_,"axG",@progbits,_ZN9rocsparseL23csric0_binsearch_kernelILj256ELj32ELb0E21rocsparse_complex_numIfEEEviPKiS4_PT2_S4_PiS4_S7_S7_d21rocsparse_index_base_,comdat
.Lfunc_end32:
	.size	_ZN9rocsparseL23csric0_binsearch_kernelILj256ELj32ELb0E21rocsparse_complex_numIfEEEviPKiS4_PT2_S4_PiS4_S7_S7_d21rocsparse_index_base_, .Lfunc_end32-_ZN9rocsparseL23csric0_binsearch_kernelILj256ELj32ELb0E21rocsparse_complex_numIfEEEviPKiS4_PT2_S4_PiS4_S7_S7_d21rocsparse_index_base_
                                        ; -- End function
	.set _ZN9rocsparseL23csric0_binsearch_kernelILj256ELj32ELb0E21rocsparse_complex_numIfEEEviPKiS4_PT2_S4_PiS4_S7_S7_d21rocsparse_index_base_.num_vgpr, 33
	.set _ZN9rocsparseL23csric0_binsearch_kernelILj256ELj32ELb0E21rocsparse_complex_numIfEEEviPKiS4_PT2_S4_PiS4_S7_S7_d21rocsparse_index_base_.num_agpr, 0
	.set _ZN9rocsparseL23csric0_binsearch_kernelILj256ELj32ELb0E21rocsparse_complex_numIfEEEviPKiS4_PT2_S4_PiS4_S7_S7_d21rocsparse_index_base_.numbered_sgpr, 28
	.set _ZN9rocsparseL23csric0_binsearch_kernelILj256ELj32ELb0E21rocsparse_complex_numIfEEEviPKiS4_PT2_S4_PiS4_S7_S7_d21rocsparse_index_base_.num_named_barrier, 0
	.set _ZN9rocsparseL23csric0_binsearch_kernelILj256ELj32ELb0E21rocsparse_complex_numIfEEEviPKiS4_PT2_S4_PiS4_S7_S7_d21rocsparse_index_base_.private_seg_size, 0
	.set _ZN9rocsparseL23csric0_binsearch_kernelILj256ELj32ELb0E21rocsparse_complex_numIfEEEviPKiS4_PT2_S4_PiS4_S7_S7_d21rocsparse_index_base_.uses_vcc, 1
	.set _ZN9rocsparseL23csric0_binsearch_kernelILj256ELj32ELb0E21rocsparse_complex_numIfEEEviPKiS4_PT2_S4_PiS4_S7_S7_d21rocsparse_index_base_.uses_flat_scratch, 0
	.set _ZN9rocsparseL23csric0_binsearch_kernelILj256ELj32ELb0E21rocsparse_complex_numIfEEEviPKiS4_PT2_S4_PiS4_S7_S7_d21rocsparse_index_base_.has_dyn_sized_stack, 0
	.set _ZN9rocsparseL23csric0_binsearch_kernelILj256ELj32ELb0E21rocsparse_complex_numIfEEEviPKiS4_PT2_S4_PiS4_S7_S7_d21rocsparse_index_base_.has_recursion, 0
	.set _ZN9rocsparseL23csric0_binsearch_kernelILj256ELj32ELb0E21rocsparse_complex_numIfEEEviPKiS4_PT2_S4_PiS4_S7_S7_d21rocsparse_index_base_.has_indirect_call, 0
	.section	.AMDGPU.csdata,"",@progbits
; Kernel info:
; codeLenInByte = 2644
; TotalNumSgprs: 30
; NumVgprs: 33
; ScratchSize: 0
; MemoryBound: 0
; FloatMode: 240
; IeeeMode: 1
; LDSByteSize: 0 bytes/workgroup (compile time only)
; SGPRBlocks: 0
; VGPRBlocks: 4
; NumSGPRsForWavesPerEU: 30
; NumVGPRsForWavesPerEU: 33
; Occupancy: 16
; WaveLimiterHint : 1
; COMPUTE_PGM_RSRC2:SCRATCH_EN: 0
; COMPUTE_PGM_RSRC2:USER_SGPR: 6
; COMPUTE_PGM_RSRC2:TRAP_HANDLER: 0
; COMPUTE_PGM_RSRC2:TGID_X_EN: 1
; COMPUTE_PGM_RSRC2:TGID_Y_EN: 0
; COMPUTE_PGM_RSRC2:TGID_Z_EN: 0
; COMPUTE_PGM_RSRC2:TIDIG_COMP_CNT: 0
	.section	.text._ZN9rocsparseL18csric0_hash_kernelILj256ELj64ELj1E21rocsparse_complex_numIfEEEviPKiS4_PT2_S4_PiS4_S7_S7_d21rocsparse_index_base_,"axG",@progbits,_ZN9rocsparseL18csric0_hash_kernelILj256ELj64ELj1E21rocsparse_complex_numIfEEEviPKiS4_PT2_S4_PiS4_S7_S7_d21rocsparse_index_base_,comdat
	.globl	_ZN9rocsparseL18csric0_hash_kernelILj256ELj64ELj1E21rocsparse_complex_numIfEEEviPKiS4_PT2_S4_PiS4_S7_S7_d21rocsparse_index_base_ ; -- Begin function _ZN9rocsparseL18csric0_hash_kernelILj256ELj64ELj1E21rocsparse_complex_numIfEEEviPKiS4_PT2_S4_PiS4_S7_S7_d21rocsparse_index_base_
	.p2align	8
	.type	_ZN9rocsparseL18csric0_hash_kernelILj256ELj64ELj1E21rocsparse_complex_numIfEEEviPKiS4_PT2_S4_PiS4_S7_S7_d21rocsparse_index_base_,@function
_ZN9rocsparseL18csric0_hash_kernelILj256ELj64ELj1E21rocsparse_complex_numIfEEEviPKiS4_PT2_S4_PiS4_S7_S7_d21rocsparse_index_base_: ; @_ZN9rocsparseL18csric0_hash_kernelILj256ELj64ELj1E21rocsparse_complex_numIfEEEviPKiS4_PT2_S4_PiS4_S7_S7_d21rocsparse_index_base_
; %bb.0:
	s_load_dword s0, s[4:5], 0x0
	v_and_b32_e32 v6, 0xc0, v0
	v_lshrrev_b32_e32 v1, 6, v0
	s_lshl_b32 s1, s6, 2
	v_and_b32_e32 v14, 63, v0
	v_mov_b32_e32 v2, -1
	v_lshl_or_b32 v15, v6, 2, 0x400
	v_and_or_b32 v0, 0x3fffffc, s1, v1
	v_lshl_or_b32 v1, v14, 2, v15
	ds_write_b32 v1, v2
	s_waitcnt lgkmcnt(0)
	buffer_gl0_inv
	v_cmp_gt_i32_e32 vcc_lo, s0, v0
	s_and_saveexec_b32 s0, vcc_lo
	s_cbranch_execz .LBB33_52
; %bb.1:
	s_load_dwordx8 s[8:15], s[4:5], 0x28
	v_lshlrev_b32_e32 v0, 2, v0
	s_clause 0x1
	s_load_dwordx8 s[16:23], s[4:5], 0x8
	s_load_dword s2, s[4:5], 0x50
	v_lshlrev_b32_e32 v16, 2, v6
	s_mov_b32 s0, exec_lo
	s_waitcnt lgkmcnt(0)
	global_load_dword v2, v0, s[10:11]
	s_waitcnt vmcnt(0)
	v_ashrrev_i32_e32 v3, 31, v2
	v_lshlrev_b64 v[0:1], 2, v[2:3]
	v_add_co_u32 v3, vcc_lo, s16, v0
	v_add_co_ci_u32_e64 v4, null, s17, v1, vcc_lo
	v_add_co_u32 v7, vcc_lo, s22, v0
	v_add_co_ci_u32_e64 v8, null, s23, v1, vcc_lo
	global_load_dwordx2 v[4:5], v[3:4], off
	global_load_dword v3, v[7:8], off
	s_waitcnt vmcnt(1)
	v_subrev_nc_u32_e32 v4, s2, v4
	v_subrev_nc_u32_e32 v7, s2, v5
	v_add_nc_u32_e32 v5, v4, v14
	v_cmpx_lt_i32_e64 v5, v7
	s_cbranch_execz .LBB33_11
; %bb.2:
	v_mov_b32_e32 v8, -1
	s_mov_b32 s1, 0
	s_branch .LBB33_4
.LBB33_3:                               ;   in Loop: Header=BB33_4 Depth=1
	s_or_b32 exec_lo, exec_lo, s3
	v_add_nc_u32_e32 v5, 64, v5
	v_cmp_ge_i32_e32 vcc_lo, v5, v7
	s_or_b32 s1, vcc_lo, s1
	s_andn2_b32 exec_lo, exec_lo, s1
	s_cbranch_execz .LBB33_11
.LBB33_4:                               ; =>This Loop Header: Depth=1
                                        ;     Child Loop BB33_7 Depth 2
	v_ashrrev_i32_e32 v6, 31, v5
	s_mov_b32 s3, exec_lo
	v_lshlrev_b64 v[9:10], 2, v[5:6]
	v_add_co_u32 v9, vcc_lo, s18, v9
	v_add_co_ci_u32_e64 v10, null, s19, v10, vcc_lo
	global_load_dword v6, v[9:10], off
	s_waitcnt vmcnt(0)
	v_mul_lo_u32 v9, v6, 39
	v_and_b32_e32 v9, 63, v9
	v_lshl_add_u32 v10, v9, 2, v15
	ds_read_b32 v11, v10
	s_waitcnt lgkmcnt(0)
	v_cmpx_ne_u32_e64 v11, v6
	s_cbranch_execz .LBB33_3
; %bb.5:                                ;   in Loop: Header=BB33_4 Depth=1
	s_mov_b32 s6, 0
                                        ; implicit-def: $sgpr7
                                        ; implicit-def: $sgpr11
                                        ; implicit-def: $sgpr10
	s_inst_prefetch 0x1
	s_branch .LBB33_7
	.p2align	6
.LBB33_6:                               ;   in Loop: Header=BB33_7 Depth=2
	s_or_b32 exec_lo, exec_lo, s24
	s_and_b32 s24, exec_lo, s11
	s_or_b32 s6, s24, s6
	s_andn2_b32 s7, s7, exec_lo
	s_and_b32 s24, s10, exec_lo
	s_or_b32 s7, s7, s24
	s_andn2_b32 exec_lo, exec_lo, s6
	s_cbranch_execz .LBB33_9
.LBB33_7:                               ;   Parent Loop BB33_4 Depth=1
                                        ; =>  This Inner Loop Header: Depth=2
	ds_cmpst_rtn_b32 v10, v10, v8, v6
	v_mov_b32_e32 v11, v9
	s_or_b32 s10, s10, exec_lo
	s_or_b32 s11, s11, exec_lo
                                        ; implicit-def: $vgpr9
	s_waitcnt lgkmcnt(0)
	v_cmp_ne_u32_e32 vcc_lo, -1, v10
                                        ; implicit-def: $vgpr10
	s_and_saveexec_b32 s24, vcc_lo
	s_cbranch_execz .LBB33_6
; %bb.8:                                ;   in Loop: Header=BB33_7 Depth=2
	v_add_nc_u32_e32 v9, 1, v11
	s_andn2_b32 s11, s11, exec_lo
	s_andn2_b32 s10, s10, exec_lo
	v_and_b32_e32 v9, 63, v9
	v_lshl_add_u32 v10, v9, 2, v15
	ds_read_b32 v12, v10
	s_waitcnt lgkmcnt(0)
	v_cmp_eq_u32_e32 vcc_lo, v12, v6
	s_and_b32 s25, vcc_lo, exec_lo
	s_or_b32 s11, s11, s25
	s_branch .LBB33_6
.LBB33_9:                               ;   in Loop: Header=BB33_4 Depth=1
	s_inst_prefetch 0x2
	s_or_b32 exec_lo, exec_lo, s6
	s_and_saveexec_b32 s6, s7
	s_xor_b32 s6, exec_lo, s6
	s_cbranch_execz .LBB33_3
; %bb.10:                               ;   in Loop: Header=BB33_4 Depth=1
	v_lshl_add_u32 v6, v11, 2, v16
	ds_write_b32 v6, v5
	s_branch .LBB33_3
.LBB33_11:
	s_or_b32 exec_lo, exec_lo, s0
	v_mov_b32_e32 v17, 0
	v_mov_b32_e32 v18, 0
	s_mov_b32 s3, exec_lo
	s_waitcnt vmcnt(0) lgkmcnt(0)
	buffer_gl0_inv
	v_cmpx_lt_i32_e64 v4, v3
	s_cbranch_execz .LBB33_33
; %bb.12:
	v_add_nc_u32_e32 v19, -1, v3
	v_subrev_nc_u32_e32 v20, s2, v14
	v_cmp_eq_u32_e64 s0, 63, v14
	v_mov_b32_e32 v17, 0
	v_mbcnt_lo_u32_b32 v21, -1, 0
	v_mov_b32_e32 v18, 0
	s_mov_b32 s6, 0
	s_branch .LBB33_15
.LBB33_13:                              ;   in Loop: Header=BB33_15 Depth=1
	s_or_b32 exec_lo, exec_lo, s7
	v_add_nc_u32_e32 v4, 1, v4
	v_cmp_ge_i32_e32 vcc_lo, v4, v3
	s_orn2_b32 s7, vcc_lo, exec_lo
.LBB33_14:                              ;   in Loop: Header=BB33_15 Depth=1
	s_or_b32 exec_lo, exec_lo, s1
	s_and_b32 s1, exec_lo, s7
	s_or_b32 s6, s1, s6
	s_andn2_b32 exec_lo, exec_lo, s6
	s_cbranch_execz .LBB33_32
.LBB33_15:                              ; =>This Loop Header: Depth=1
                                        ;     Child Loop BB33_16 Depth 2
                                        ;     Child Loop BB33_22 Depth 2
                                        ;       Child Loop BB33_25 Depth 3
	v_ashrrev_i32_e32 v5, 31, v4
	s_mov_b32 s1, 0
	v_lshlrev_b64 v[6:7], 2, v[4:5]
	v_lshlrev_b64 v[8:9], 3, v[4:5]
	v_add_co_u32 v6, vcc_lo, s18, v6
	v_add_co_ci_u32_e64 v7, null, s19, v7, vcc_lo
	v_add_co_u32 v5, vcc_lo, s20, v8
	global_load_dword v6, v[6:7], off
	s_waitcnt vmcnt(0)
	v_subrev_nc_u32_e32 v6, s2, v6
	v_ashrrev_i32_e32 v7, 31, v6
	s_waitcnt lgkmcnt(0)
	v_lshlrev_b64 v[22:23], 2, v[6:7]
	v_add_co_ci_u32_e64 v6, null, s21, v9, vcc_lo
	v_add_co_u32 v9, vcc_lo, s16, v22
	v_add_co_ci_u32_e64 v10, null, s17, v23, vcc_lo
	v_add_co_u32 v11, vcc_lo, s22, v22
	v_add_co_ci_u32_e64 v12, null, s23, v23, vcc_lo
	global_load_dwordx2 v[7:8], v[5:6], off
	global_load_dword v13, v[9:10], off
	global_load_dword v11, v[11:12], off
	v_add_co_u32 v9, vcc_lo, s8, v22
	v_add_co_ci_u32_e64 v10, null, s9, v23, vcc_lo
.LBB33_16:                              ;   Parent Loop BB33_15 Depth=1
                                        ; =>  This Inner Loop Header: Depth=2
	global_load_dword v12, v[9:10], off glc dlc
	s_waitcnt vmcnt(0)
	v_cmp_ne_u32_e32 vcc_lo, 0, v12
	s_or_b32 s1, vcc_lo, s1
	s_andn2_b32 exec_lo, exec_lo, s1
	s_cbranch_execnz .LBB33_16
; %bb.17:                               ;   in Loop: Header=BB33_15 Depth=1
	s_or_b32 exec_lo, exec_lo, s1
	v_cmp_eq_u32_e32 vcc_lo, -1, v11
	buffer_gl1_inv
	buffer_gl0_inv
	s_mov_b32 s7, -1
	v_cndmask_b32_e32 v11, v11, v19, vcc_lo
	v_ashrrev_i32_e32 v12, 31, v11
	v_lshlrev_b64 v[9:10], 3, v[11:12]
	v_add_co_u32 v9, vcc_lo, s20, v9
	v_add_co_ci_u32_e64 v10, null, s21, v10, vcc_lo
	global_load_dwordx2 v[9:10], v[9:10], off
	s_waitcnt vmcnt(0)
	v_cmp_neq_f32_e32 vcc_lo, 0, v9
	v_cmp_neq_f32_e64 s1, 0, v10
	s_or_b32 s10, vcc_lo, s1
	s_and_saveexec_b32 s1, s10
	s_cbranch_execz .LBB33_14
; %bb.18:                               ;   in Loop: Header=BB33_15 Depth=1
	v_add_nc_u32_e32 v12, v20, v13
	v_mov_b32_e32 v22, 0
	v_mov_b32_e32 v23, 0
	s_mov_b32 s7, exec_lo
	v_cmpx_lt_i32_e64 v12, v11
	s_cbranch_execz .LBB33_30
; %bb.19:                               ;   in Loop: Header=BB33_15 Depth=1
	v_mov_b32_e32 v22, 0
	v_mov_b32_e32 v23, 0
	s_mov_b32 s10, 0
	s_branch .LBB33_22
.LBB33_20:                              ;   in Loop: Header=BB33_22 Depth=2
	s_or_b32 exec_lo, exec_lo, s24
.LBB33_21:                              ;   in Loop: Header=BB33_22 Depth=2
	s_or_b32 exec_lo, exec_lo, s11
	v_add_nc_u32_e32 v12, 64, v12
	v_cmp_ge_i32_e32 vcc_lo, v12, v11
	s_or_b32 s10, vcc_lo, s10
	s_andn2_b32 exec_lo, exec_lo, s10
	s_cbranch_execz .LBB33_29
.LBB33_22:                              ;   Parent Loop BB33_15 Depth=1
                                        ; =>  This Loop Header: Depth=2
                                        ;       Child Loop BB33_25 Depth 3
	v_ashrrev_i32_e32 v13, 31, v12
	s_mov_b32 s11, exec_lo
	v_lshlrev_b64 v[24:25], 2, v[12:13]
	v_add_co_u32 v24, vcc_lo, s18, v24
	v_add_co_ci_u32_e64 v25, null, s19, v25, vcc_lo
	global_load_dword v24, v[24:25], off
	s_waitcnt vmcnt(0)
	v_mul_lo_u32 v25, v24, 39
	v_and_b32_e32 v27, 63, v25
	v_lshl_add_u32 v25, v27, 2, v15
	ds_read_b32 v26, v25
	s_waitcnt lgkmcnt(0)
	v_cmpx_ne_u32_e32 -1, v26
	s_cbranch_execz .LBB33_21
; %bb.23:                               ;   in Loop: Header=BB33_22 Depth=2
	s_mov_b32 s25, 0
                                        ; implicit-def: $sgpr24
                                        ; implicit-def: $sgpr27
                                        ; implicit-def: $sgpr26
	s_inst_prefetch 0x1
	s_branch .LBB33_25
	.p2align	6
.LBB33_24:                              ;   in Loop: Header=BB33_25 Depth=3
	s_or_b32 exec_lo, exec_lo, s28
	s_and_b32 s28, exec_lo, s27
	s_or_b32 s25, s28, s25
	s_andn2_b32 s24, s24, exec_lo
	s_and_b32 s28, s26, exec_lo
	s_or_b32 s24, s24, s28
	s_andn2_b32 exec_lo, exec_lo, s25
	s_cbranch_execz .LBB33_27
.LBB33_25:                              ;   Parent Loop BB33_15 Depth=1
                                        ;     Parent Loop BB33_22 Depth=2
                                        ; =>    This Inner Loop Header: Depth=3
	v_mov_b32_e32 v25, v27
	v_cmp_ne_u32_e32 vcc_lo, v26, v24
	s_or_b32 s26, s26, exec_lo
	s_or_b32 s27, s27, exec_lo
                                        ; implicit-def: $vgpr27
                                        ; implicit-def: $vgpr26
	s_and_saveexec_b32 s28, vcc_lo
	s_cbranch_execz .LBB33_24
; %bb.26:                               ;   in Loop: Header=BB33_25 Depth=3
	v_add_nc_u32_e32 v26, 1, v25
	s_andn2_b32 s27, s27, exec_lo
	s_andn2_b32 s26, s26, exec_lo
	v_and_b32_e32 v27, 63, v26
	v_lshl_add_u32 v26, v27, 2, v15
	ds_read_b32 v26, v26
	s_waitcnt lgkmcnt(0)
	v_cmp_eq_u32_e32 vcc_lo, -1, v26
	s_and_b32 s29, vcc_lo, exec_lo
	s_or_b32 s27, s27, s29
	s_branch .LBB33_24
.LBB33_27:                              ;   in Loop: Header=BB33_22 Depth=2
	s_inst_prefetch 0x2
	s_or_b32 exec_lo, exec_lo, s25
	s_and_saveexec_b32 s25, s24
	s_xor_b32 s24, exec_lo, s25
	s_cbranch_execz .LBB33_20
; %bb.28:                               ;   in Loop: Header=BB33_22 Depth=2
	v_lshl_add_u32 v24, v25, 2, v16
	v_lshlrev_b64 v[26:27], 3, v[12:13]
	ds_read_b32 v24, v24
	v_add_co_u32 v26, vcc_lo, s20, v26
	v_add_co_ci_u32_e64 v27, null, s21, v27, vcc_lo
	s_waitcnt lgkmcnt(0)
	v_ashrrev_i32_e32 v25, 31, v24
	v_lshlrev_b64 v[24:25], 3, v[24:25]
	v_add_co_u32 v24, vcc_lo, s20, v24
	v_add_co_ci_u32_e64 v25, null, s21, v25, vcc_lo
	s_clause 0x1
	global_load_dwordx2 v[26:27], v[26:27], off
	global_load_dwordx2 v[24:25], v[24:25], off
	s_waitcnt vmcnt(0)
	v_fmac_f32_e32 v23, v26, v24
	v_fmac_f32_e32 v22, v27, v24
	;; [unrolled: 1-line block ×3, first 2 shown]
	v_fma_f32 v22, v26, -v25, v22
	s_branch .LBB33_20
.LBB33_29:                              ;   in Loop: Header=BB33_15 Depth=1
	s_or_b32 exec_lo, exec_lo, s10
.LBB33_30:                              ;   in Loop: Header=BB33_15 Depth=1
	s_or_b32 exec_lo, exec_lo, s7
	v_or_b32_e32 v11, 32, v21
	v_xor_b32_e32 v13, 16, v21
	v_cmp_gt_i32_e32 vcc_lo, 32, v11
	v_cndmask_b32_e32 v11, v21, v11, vcc_lo
	v_cmp_gt_i32_e32 vcc_lo, 32, v13
	v_lshlrev_b32_e32 v11, 2, v11
	v_cndmask_b32_e32 v13, v21, v13, vcc_lo
	ds_bpermute_b32 v12, v11, v23
	ds_bpermute_b32 v11, v11, v22
	v_lshlrev_b32_e32 v13, 2, v13
	s_waitcnt lgkmcnt(1)
	v_add_f32_e32 v12, v23, v12
	s_waitcnt lgkmcnt(0)
	v_add_f32_e32 v11, v22, v11
	v_xor_b32_e32 v23, 8, v21
	ds_bpermute_b32 v22, v13, v12
	ds_bpermute_b32 v13, v13, v11
	v_cmp_gt_i32_e32 vcc_lo, 32, v23
	v_cndmask_b32_e32 v23, v21, v23, vcc_lo
	v_lshlrev_b32_e32 v23, 2, v23
	s_waitcnt lgkmcnt(1)
	v_add_f32_e32 v12, v12, v22
	s_waitcnt lgkmcnt(0)
	v_add_f32_e32 v11, v11, v13
	ds_bpermute_b32 v13, v23, v12
	ds_bpermute_b32 v22, v23, v11
	v_xor_b32_e32 v23, 4, v21
	v_cmp_gt_i32_e32 vcc_lo, 32, v23
	v_cndmask_b32_e32 v23, v21, v23, vcc_lo
	v_lshlrev_b32_e32 v23, 2, v23
	s_waitcnt lgkmcnt(1)
	v_add_f32_e32 v12, v12, v13
	s_waitcnt lgkmcnt(0)
	v_add_f32_e32 v11, v11, v22
	ds_bpermute_b32 v13, v23, v12
	ds_bpermute_b32 v22, v23, v11
	v_xor_b32_e32 v23, 2, v21
	;; [unrolled: 10-line block ×3, first 2 shown]
	v_cmp_gt_i32_e32 vcc_lo, 32, v23
	v_cndmask_b32_e32 v23, v21, v23, vcc_lo
	v_lshlrev_b32_e32 v23, 2, v23
	s_waitcnt lgkmcnt(1)
	v_add_f32_e32 v11, v12, v11
	s_waitcnt lgkmcnt(0)
	v_add_f32_e32 v13, v13, v22
	ds_bpermute_b32 v12, v23, v11
	ds_bpermute_b32 v22, v23, v13
	s_and_saveexec_b32 s7, s0
	s_cbranch_execz .LBB33_13
; %bb.31:                               ;   in Loop: Header=BB33_15 Depth=1
	v_mul_f32_e32 v23, v10, v10
	s_waitcnt lgkmcnt(0)
	v_add_f32_e32 v13, v13, v22
	v_add_f32_e32 v11, v11, v12
	v_fmac_f32_e32 v23, v9, v9
	v_sub_f32_e32 v11, v7, v11
	v_div_scale_f32 v24, null, v23, v23, 1.0
	v_div_scale_f32 v27, vcc_lo, 1.0, v23, 1.0
	v_rcp_f32_e32 v25, v24
	v_fma_f32 v26, -v24, v25, 1.0
	v_fmac_f32_e32 v25, v26, v25
	v_mul_f32_e32 v26, v27, v25
	v_fma_f32 v28, -v24, v26, v27
	v_fmac_f32_e32 v26, v28, v25
	v_fma_f32 v24, -v24, v26, v27
	v_div_fmas_f32 v24, v24, v25, v26
	v_fma_f32 v25, v9, 0, -v10
	v_fma_f32 v9, 0, v10, v9
	v_sub_f32_e32 v10, v8, v13
	v_div_fixup_f32 v22, v24, v23, 1.0
	v_mul_f32_e32 v8, v25, v22
	v_mul_f32_e32 v9, v9, v22
	v_mul_f32_e64 v7, v8, -v10
	v_mul_f32_e32 v8, v8, v11
	v_fmac_f32_e32 v7, v11, v9
	v_fmac_f32_e32 v8, v10, v9
	;; [unrolled: 1-line block ×4, first 2 shown]
	global_store_dwordx2 v[5:6], v[7:8], off
	v_fmac_f32_e32 v18, v8, v8
	v_fma_f32 v17, v7, -v8, v17
	s_branch .LBB33_13
.LBB33_32:
	s_or_b32 exec_lo, exec_lo, s6
.LBB33_33:
	s_or_b32 exec_lo, exec_lo, s3
	v_cmp_eq_u32_e64 s0, 63, v14
	v_cmp_lt_i32_e32 vcc_lo, -1, v3
	s_and_b32 s1, s0, vcc_lo
	s_and_saveexec_b32 s3, s1
	s_cbranch_execz .LBB33_50
; %bb.34:
	v_mov_b32_e32 v4, 0
	s_load_dwordx2 s[4:5], s[4:5], 0x48
	v_add_nc_u32_e32 v2, s2, v2
	v_lshlrev_b64 v[3:4], 3, v[3:4]
	v_add_co_u32 v3, vcc_lo, s20, v3
	v_add_co_ci_u32_e64 v4, null, s21, v4, vcc_lo
	global_load_dwordx2 v[5:6], v[3:4], off
	s_waitcnt lgkmcnt(0)
	v_mul_f64 v[7:8], s[4:5], s[4:5]
	s_waitcnt vmcnt(0)
	v_sub_f32_e32 v5, v5, v18
	v_cvt_f64_f32_e32 v[9:10], v5
	v_cmp_ge_f64_e32 vcc_lo, v[7:8], v[9:10]
	v_sub_f32_e32 v7, v6, v17
	v_cmp_eq_f32_e64 s1, 0, v7
	s_and_b32 s2, vcc_lo, s1
	s_and_saveexec_b32 s1, s2
	s_cbranch_execz .LBB33_39
; %bb.35:
	s_mov_b32 s4, exec_lo
	s_brev_b32 s2, -2
.LBB33_36:                              ; =>This Inner Loop Header: Depth=1
	s_ff1_i32_b32 s5, s4
	v_readlane_b32 s6, v2, s5
	s_lshl_b32 s5, 1, s5
	s_andn2_b32 s4, s4, s5
	s_min_i32 s2, s2, s6
	s_cmp_lg_u32 s4, 0
	s_cbranch_scc1 .LBB33_36
; %bb.37:
	v_mbcnt_lo_u32_b32 v6, exec_lo, 0
	s_mov_b32 s4, exec_lo
	v_cmpx_eq_u32_e32 0, v6
	s_xor_b32 s4, exec_lo, s4
	s_cbranch_execz .LBB33_39
; %bb.38:
	v_mov_b32_e32 v6, 0
	v_mov_b32_e32 v8, s2
	global_atomic_smin v6, v8, s[14:15]
.LBB33_39:
	s_or_b32 exec_lo, exec_lo, s1
	v_cmp_gt_f32_e32 vcc_lo, 0, v5
                                        ; implicit-def: $vgpr8
	s_mov_b32 s1, exec_lo
	v_cndmask_b32_e64 v5, v5, -v5, vcc_lo
	v_cmp_gt_f32_e32 vcc_lo, 0, v7
	v_cndmask_b32_e64 v6, v7, -v7, vcc_lo
	v_cmpx_ngt_f32_e32 v5, v6
	s_xor_b32 s2, exec_lo, s1
	s_cbranch_execz .LBB33_43
; %bb.40:
	v_mov_b32_e32 v8, 0
	s_mov_b32 s4, exec_lo
	v_cmpx_neq_f32_e32 0, v7
	s_cbranch_execz .LBB33_42
; %bb.41:
	v_div_scale_f32 v7, null, v6, v6, v5
	v_div_scale_f32 v10, vcc_lo, v5, v6, v5
	v_rcp_f32_e32 v8, v7
	v_fma_f32 v9, -v7, v8, 1.0
	v_fmac_f32_e32 v8, v9, v8
	v_mul_f32_e32 v9, v10, v8
	v_fma_f32 v11, -v7, v9, v10
	v_fmac_f32_e32 v9, v11, v8
	v_fma_f32 v7, -v7, v9, v10
	v_div_fmas_f32 v7, v7, v8, v9
	v_div_fixup_f32 v5, v7, v6, v5
	v_fma_f32 v5, v5, v5, 1.0
	v_mul_f32_e32 v7, 0x4f800000, v5
	v_cmp_gt_f32_e32 vcc_lo, 0xf800000, v5
	v_cndmask_b32_e32 v5, v5, v7, vcc_lo
	v_sqrt_f32_e32 v7, v5
	v_add_nc_u32_e32 v8, -1, v7
	v_add_nc_u32_e32 v9, 1, v7
	v_fma_f32 v10, -v8, v7, v5
	v_fma_f32 v11, -v9, v7, v5
	v_cmp_ge_f32_e64 s1, 0, v10
	v_cndmask_b32_e64 v7, v7, v8, s1
	v_cmp_lt_f32_e64 s1, 0, v11
	v_cndmask_b32_e64 v7, v7, v9, s1
	v_mul_f32_e32 v8, 0x37800000, v7
	v_cndmask_b32_e32 v7, v7, v8, vcc_lo
	v_cmp_class_f32_e64 vcc_lo, v5, 0x260
	v_cndmask_b32_e32 v5, v7, v5, vcc_lo
	v_mul_f32_e32 v8, v6, v5
.LBB33_42:
	s_or_b32 exec_lo, exec_lo, s4
                                        ; implicit-def: $vgpr5
                                        ; implicit-def: $vgpr6
.LBB33_43:
	s_andn2_saveexec_b32 s2, s2
	s_cbranch_execz .LBB33_45
; %bb.44:
	v_div_scale_f32 v7, null, v5, v5, v6
	v_div_scale_f32 v10, vcc_lo, v6, v5, v6
	v_rcp_f32_e32 v8, v7
	v_fma_f32 v9, -v7, v8, 1.0
	v_fmac_f32_e32 v8, v9, v8
	v_mul_f32_e32 v9, v10, v8
	v_fma_f32 v11, -v7, v9, v10
	v_fmac_f32_e32 v9, v11, v8
	v_fma_f32 v7, -v7, v9, v10
	v_div_fmas_f32 v7, v7, v8, v9
	v_div_fixup_f32 v6, v7, v5, v6
	v_fma_f32 v6, v6, v6, 1.0
	v_mul_f32_e32 v7, 0x4f800000, v6
	v_cmp_gt_f32_e32 vcc_lo, 0xf800000, v6
	v_cndmask_b32_e32 v6, v6, v7, vcc_lo
	v_sqrt_f32_e32 v7, v6
	v_add_nc_u32_e32 v8, -1, v7
	v_add_nc_u32_e32 v9, 1, v7
	v_fma_f32 v10, -v8, v7, v6
	v_fma_f32 v11, -v9, v7, v6
	v_cmp_ge_f32_e64 s1, 0, v10
	v_cndmask_b32_e64 v7, v7, v8, s1
	v_cmp_lt_f32_e64 s1, 0, v11
	v_cndmask_b32_e64 v7, v7, v9, s1
	v_mul_f32_e32 v8, 0x37800000, v7
	v_cndmask_b32_e32 v7, v7, v8, vcc_lo
	v_cmp_class_f32_e64 vcc_lo, v6, 0x260
	v_cndmask_b32_e32 v6, v7, v6, vcc_lo
	v_mul_f32_e32 v8, v5, v6
.LBB33_45:
	s_or_b32 exec_lo, exec_lo, s2
	v_mul_f32_e32 v5, 0x4f800000, v8
	v_cmp_gt_f32_e32 vcc_lo, 0xf800000, v8
	v_cndmask_b32_e32 v5, v8, v5, vcc_lo
	v_sqrt_f32_e32 v6, v5
	v_add_nc_u32_e32 v7, -1, v6
	v_add_nc_u32_e32 v9, 1, v6
	v_fma_f32 v10, -v7, v6, v5
	v_fma_f32 v11, -v9, v6, v5
	v_cmp_ge_f32_e64 s1, 0, v10
	v_cndmask_b32_e64 v6, v6, v7, s1
	v_cmp_lt_f32_e64 s1, 0, v11
	v_cndmask_b32_e64 v6, v6, v9, s1
	v_mul_f32_e32 v7, 0x37800000, v6
	v_cndmask_b32_e32 v6, v6, v7, vcc_lo
	v_cmp_class_f32_e64 vcc_lo, v5, 0x260
	v_cndmask_b32_e32 v5, v6, v5, vcc_lo
	v_mov_b32_e32 v6, 0
	v_cmp_eq_f32_e32 vcc_lo, 0, v8
	global_store_dwordx2 v[3:4], v[5:6], off
	s_and_b32 exec_lo, exec_lo, vcc_lo
	s_cbranch_execz .LBB33_50
; %bb.46:
	s_mov_b32 s2, exec_lo
	s_brev_b32 s1, -2
.LBB33_47:                              ; =>This Inner Loop Header: Depth=1
	s_ff1_i32_b32 s4, s2
	v_readlane_b32 s5, v2, s4
	s_lshl_b32 s4, 1, s4
	s_andn2_b32 s2, s2, s4
	s_min_i32 s1, s1, s5
	s_cmp_lg_u32 s2, 0
	s_cbranch_scc1 .LBB33_47
; %bb.48:
	v_mbcnt_lo_u32_b32 v2, exec_lo, 0
	s_mov_b32 s2, exec_lo
	v_cmpx_eq_u32_e32 0, v2
	s_xor_b32 s2, exec_lo, s2
	s_cbranch_execz .LBB33_50
; %bb.49:
	v_mov_b32_e32 v2, 0
	v_mov_b32_e32 v3, s1
	global_atomic_smin v2, v3, s[12:13]
.LBB33_50:
	s_or_b32 exec_lo, exec_lo, s3
	s_and_b32 exec_lo, exec_lo, s0
	s_cbranch_execz .LBB33_52
; %bb.51:
	v_add_co_u32 v0, vcc_lo, s8, v0
	v_add_co_ci_u32_e64 v1, null, s9, v1, vcc_lo
	v_mov_b32_e32 v2, 1
	s_waitcnt lgkmcnt(0)
	s_waitcnt_vscnt null, 0x0
	global_store_dword v[0:1], v2, off
.LBB33_52:
	s_endpgm
	.section	.rodata,"a",@progbits
	.p2align	6, 0x0
	.amdhsa_kernel _ZN9rocsparseL18csric0_hash_kernelILj256ELj64ELj1E21rocsparse_complex_numIfEEEviPKiS4_PT2_S4_PiS4_S7_S7_d21rocsparse_index_base_
		.amdhsa_group_segment_fixed_size 2048
		.amdhsa_private_segment_fixed_size 0
		.amdhsa_kernarg_size 84
		.amdhsa_user_sgpr_count 6
		.amdhsa_user_sgpr_private_segment_buffer 1
		.amdhsa_user_sgpr_dispatch_ptr 0
		.amdhsa_user_sgpr_queue_ptr 0
		.amdhsa_user_sgpr_kernarg_segment_ptr 1
		.amdhsa_user_sgpr_dispatch_id 0
		.amdhsa_user_sgpr_flat_scratch_init 0
		.amdhsa_user_sgpr_private_segment_size 0
		.amdhsa_wavefront_size32 1
		.amdhsa_uses_dynamic_stack 0
		.amdhsa_system_sgpr_private_segment_wavefront_offset 0
		.amdhsa_system_sgpr_workgroup_id_x 1
		.amdhsa_system_sgpr_workgroup_id_y 0
		.amdhsa_system_sgpr_workgroup_id_z 0
		.amdhsa_system_sgpr_workgroup_info 0
		.amdhsa_system_vgpr_workitem_id 0
		.amdhsa_next_free_vgpr 29
		.amdhsa_next_free_sgpr 30
		.amdhsa_reserve_vcc 1
		.amdhsa_reserve_flat_scratch 0
		.amdhsa_float_round_mode_32 0
		.amdhsa_float_round_mode_16_64 0
		.amdhsa_float_denorm_mode_32 3
		.amdhsa_float_denorm_mode_16_64 3
		.amdhsa_dx10_clamp 1
		.amdhsa_ieee_mode 1
		.amdhsa_fp16_overflow 0
		.amdhsa_workgroup_processor_mode 1
		.amdhsa_memory_ordered 1
		.amdhsa_forward_progress 1
		.amdhsa_shared_vgpr_count 0
		.amdhsa_exception_fp_ieee_invalid_op 0
		.amdhsa_exception_fp_denorm_src 0
		.amdhsa_exception_fp_ieee_div_zero 0
		.amdhsa_exception_fp_ieee_overflow 0
		.amdhsa_exception_fp_ieee_underflow 0
		.amdhsa_exception_fp_ieee_inexact 0
		.amdhsa_exception_int_div_zero 0
	.end_amdhsa_kernel
	.section	.text._ZN9rocsparseL18csric0_hash_kernelILj256ELj64ELj1E21rocsparse_complex_numIfEEEviPKiS4_PT2_S4_PiS4_S7_S7_d21rocsparse_index_base_,"axG",@progbits,_ZN9rocsparseL18csric0_hash_kernelILj256ELj64ELj1E21rocsparse_complex_numIfEEEviPKiS4_PT2_S4_PiS4_S7_S7_d21rocsparse_index_base_,comdat
.Lfunc_end33:
	.size	_ZN9rocsparseL18csric0_hash_kernelILj256ELj64ELj1E21rocsparse_complex_numIfEEEviPKiS4_PT2_S4_PiS4_S7_S7_d21rocsparse_index_base_, .Lfunc_end33-_ZN9rocsparseL18csric0_hash_kernelILj256ELj64ELj1E21rocsparse_complex_numIfEEEviPKiS4_PT2_S4_PiS4_S7_S7_d21rocsparse_index_base_
                                        ; -- End function
	.set _ZN9rocsparseL18csric0_hash_kernelILj256ELj64ELj1E21rocsparse_complex_numIfEEEviPKiS4_PT2_S4_PiS4_S7_S7_d21rocsparse_index_base_.num_vgpr, 29
	.set _ZN9rocsparseL18csric0_hash_kernelILj256ELj64ELj1E21rocsparse_complex_numIfEEEviPKiS4_PT2_S4_PiS4_S7_S7_d21rocsparse_index_base_.num_agpr, 0
	.set _ZN9rocsparseL18csric0_hash_kernelILj256ELj64ELj1E21rocsparse_complex_numIfEEEviPKiS4_PT2_S4_PiS4_S7_S7_d21rocsparse_index_base_.numbered_sgpr, 30
	.set _ZN9rocsparseL18csric0_hash_kernelILj256ELj64ELj1E21rocsparse_complex_numIfEEEviPKiS4_PT2_S4_PiS4_S7_S7_d21rocsparse_index_base_.num_named_barrier, 0
	.set _ZN9rocsparseL18csric0_hash_kernelILj256ELj64ELj1E21rocsparse_complex_numIfEEEviPKiS4_PT2_S4_PiS4_S7_S7_d21rocsparse_index_base_.private_seg_size, 0
	.set _ZN9rocsparseL18csric0_hash_kernelILj256ELj64ELj1E21rocsparse_complex_numIfEEEviPKiS4_PT2_S4_PiS4_S7_S7_d21rocsparse_index_base_.uses_vcc, 1
	.set _ZN9rocsparseL18csric0_hash_kernelILj256ELj64ELj1E21rocsparse_complex_numIfEEEviPKiS4_PT2_S4_PiS4_S7_S7_d21rocsparse_index_base_.uses_flat_scratch, 0
	.set _ZN9rocsparseL18csric0_hash_kernelILj256ELj64ELj1E21rocsparse_complex_numIfEEEviPKiS4_PT2_S4_PiS4_S7_S7_d21rocsparse_index_base_.has_dyn_sized_stack, 0
	.set _ZN9rocsparseL18csric0_hash_kernelILj256ELj64ELj1E21rocsparse_complex_numIfEEEviPKiS4_PT2_S4_PiS4_S7_S7_d21rocsparse_index_base_.has_recursion, 0
	.set _ZN9rocsparseL18csric0_hash_kernelILj256ELj64ELj1E21rocsparse_complex_numIfEEEviPKiS4_PT2_S4_PiS4_S7_S7_d21rocsparse_index_base_.has_indirect_call, 0
	.section	.AMDGPU.csdata,"",@progbits
; Kernel info:
; codeLenInByte = 2800
; TotalNumSgprs: 32
; NumVgprs: 29
; ScratchSize: 0
; MemoryBound: 0
; FloatMode: 240
; IeeeMode: 1
; LDSByteSize: 2048 bytes/workgroup (compile time only)
; SGPRBlocks: 0
; VGPRBlocks: 3
; NumSGPRsForWavesPerEU: 32
; NumVGPRsForWavesPerEU: 29
; Occupancy: 16
; WaveLimiterHint : 1
; COMPUTE_PGM_RSRC2:SCRATCH_EN: 0
; COMPUTE_PGM_RSRC2:USER_SGPR: 6
; COMPUTE_PGM_RSRC2:TRAP_HANDLER: 0
; COMPUTE_PGM_RSRC2:TGID_X_EN: 1
; COMPUTE_PGM_RSRC2:TGID_Y_EN: 0
; COMPUTE_PGM_RSRC2:TGID_Z_EN: 0
; COMPUTE_PGM_RSRC2:TIDIG_COMP_CNT: 0
	.section	.text._ZN9rocsparseL18csric0_hash_kernelILj256ELj64ELj2E21rocsparse_complex_numIfEEEviPKiS4_PT2_S4_PiS4_S7_S7_d21rocsparse_index_base_,"axG",@progbits,_ZN9rocsparseL18csric0_hash_kernelILj256ELj64ELj2E21rocsparse_complex_numIfEEEviPKiS4_PT2_S4_PiS4_S7_S7_d21rocsparse_index_base_,comdat
	.globl	_ZN9rocsparseL18csric0_hash_kernelILj256ELj64ELj2E21rocsparse_complex_numIfEEEviPKiS4_PT2_S4_PiS4_S7_S7_d21rocsparse_index_base_ ; -- Begin function _ZN9rocsparseL18csric0_hash_kernelILj256ELj64ELj2E21rocsparse_complex_numIfEEEviPKiS4_PT2_S4_PiS4_S7_S7_d21rocsparse_index_base_
	.p2align	8
	.type	_ZN9rocsparseL18csric0_hash_kernelILj256ELj64ELj2E21rocsparse_complex_numIfEEEviPKiS4_PT2_S4_PiS4_S7_S7_d21rocsparse_index_base_,@function
_ZN9rocsparseL18csric0_hash_kernelILj256ELj64ELj2E21rocsparse_complex_numIfEEEviPKiS4_PT2_S4_PiS4_S7_S7_d21rocsparse_index_base_: ; @_ZN9rocsparseL18csric0_hash_kernelILj256ELj64ELj2E21rocsparse_complex_numIfEEEviPKiS4_PT2_S4_PiS4_S7_S7_d21rocsparse_index_base_
; %bb.0:
	s_clause 0x1
	s_load_dwordx8 s[16:23], s[4:5], 0x8
	s_load_dwordx8 s[8:15], s[4:5], 0x28
	v_lshrrev_b32_e32 v1, 6, v0
	v_and_b32_e32 v15, 63, v0
	s_mov_b32 s0, 0
	v_lshlrev_b32_e32 v3, 9, v1
	v_lshlrev_b32_e32 v4, 2, v15
	v_or_b32_e32 v2, 0xffffffc0, v15
	v_or3_b32 v3, v3, v4, 0x800
	v_mov_b32_e32 v4, -1
.LBB34_1:                               ; =>This Inner Loop Header: Depth=1
	v_add_co_u32 v2, s1, v2, 64
	s_xor_b32 s1, s1, -1
	ds_write_b32 v3, v4
	v_add_nc_u32_e32 v3, 0x100, v3
	s_and_b32 s1, exec_lo, s1
	s_or_b32 s0, s1, s0
	s_andn2_b32 exec_lo, exec_lo, s0
	s_cbranch_execnz .LBB34_1
; %bb.2:
	s_or_b32 exec_lo, exec_lo, s0
	s_load_dword s0, s[4:5], 0x0
	s_lshl_b32 s1, s6, 2
	s_waitcnt lgkmcnt(0)
	buffer_gl0_inv
	v_and_or_b32 v1, 0x3fffffc, s1, v1
	v_cmp_gt_i32_e32 vcc_lo, s0, v1
	s_and_saveexec_b32 s0, vcc_lo
	s_cbranch_execz .LBB34_54
; %bb.3:
	v_lshlrev_b32_e32 v1, 2, v1
	s_load_dword s2, s[4:5], 0x50
	v_lshlrev_b32_e32 v0, 3, v0
	s_mov_b32 s0, exec_lo
	global_load_dword v3, v1, s[10:11]
	v_and_b32_e32 v0, 0x600, v0
	v_or_b32_e32 v16, 0x800, v0
	s_waitcnt vmcnt(0)
	v_ashrrev_i32_e32 v4, 31, v3
	v_lshlrev_b64 v[1:2], 2, v[3:4]
	v_add_co_u32 v4, vcc_lo, s16, v1
	v_add_co_ci_u32_e64 v5, null, s17, v2, vcc_lo
	v_add_co_u32 v7, vcc_lo, s22, v1
	v_add_co_ci_u32_e64 v8, null, s23, v2, vcc_lo
	global_load_dwordx2 v[5:6], v[4:5], off
	global_load_dword v4, v[7:8], off
	s_waitcnt vmcnt(1) lgkmcnt(0)
	v_subrev_nc_u32_e32 v5, s2, v5
	v_subrev_nc_u32_e32 v8, s2, v6
	v_add_nc_u32_e32 v6, v5, v15
	v_cmpx_lt_i32_e64 v6, v8
	s_cbranch_execz .LBB34_13
; %bb.4:
	v_mov_b32_e32 v9, -1
	s_mov_b32 s1, 0
	s_branch .LBB34_6
.LBB34_5:                               ;   in Loop: Header=BB34_6 Depth=1
	s_or_b32 exec_lo, exec_lo, s3
	v_add_nc_u32_e32 v6, 64, v6
	v_cmp_ge_i32_e32 vcc_lo, v6, v8
	s_or_b32 s1, vcc_lo, s1
	s_andn2_b32 exec_lo, exec_lo, s1
	s_cbranch_execz .LBB34_13
.LBB34_6:                               ; =>This Loop Header: Depth=1
                                        ;     Child Loop BB34_9 Depth 2
	v_ashrrev_i32_e32 v7, 31, v6
	s_mov_b32 s3, exec_lo
	v_lshlrev_b64 v[10:11], 2, v[6:7]
	v_add_co_u32 v10, vcc_lo, s18, v10
	v_add_co_ci_u32_e64 v11, null, s19, v11, vcc_lo
	global_load_dword v7, v[10:11], off
	s_waitcnt vmcnt(0)
	v_mul_lo_u32 v10, 0x67, v7
	v_and_b32_e32 v10, 0x7f, v10
	v_lshl_add_u32 v11, v10, 2, v16
	ds_read_b32 v12, v11
	s_waitcnt lgkmcnt(0)
	v_cmpx_ne_u32_e64 v12, v7
	s_cbranch_execz .LBB34_5
; %bb.7:                                ;   in Loop: Header=BB34_6 Depth=1
	s_mov_b32 s6, 0
                                        ; implicit-def: $sgpr7
                                        ; implicit-def: $sgpr11
                                        ; implicit-def: $sgpr10
	s_inst_prefetch 0x1
	s_branch .LBB34_9
	.p2align	6
.LBB34_8:                               ;   in Loop: Header=BB34_9 Depth=2
	s_or_b32 exec_lo, exec_lo, s24
	s_and_b32 s24, exec_lo, s11
	s_or_b32 s6, s24, s6
	s_andn2_b32 s7, s7, exec_lo
	s_and_b32 s24, s10, exec_lo
	s_or_b32 s7, s7, s24
	s_andn2_b32 exec_lo, exec_lo, s6
	s_cbranch_execz .LBB34_11
.LBB34_9:                               ;   Parent Loop BB34_6 Depth=1
                                        ; =>  This Inner Loop Header: Depth=2
	ds_cmpst_rtn_b32 v11, v11, v9, v7
	v_mov_b32_e32 v12, v10
	s_or_b32 s10, s10, exec_lo
	s_or_b32 s11, s11, exec_lo
                                        ; implicit-def: $vgpr10
	s_waitcnt lgkmcnt(0)
	v_cmp_ne_u32_e32 vcc_lo, -1, v11
                                        ; implicit-def: $vgpr11
	s_and_saveexec_b32 s24, vcc_lo
	s_cbranch_execz .LBB34_8
; %bb.10:                               ;   in Loop: Header=BB34_9 Depth=2
	v_add_nc_u32_e32 v10, 1, v12
	s_andn2_b32 s11, s11, exec_lo
	s_andn2_b32 s10, s10, exec_lo
	v_and_b32_e32 v10, 0x7f, v10
	v_lshl_add_u32 v11, v10, 2, v16
	ds_read_b32 v13, v11
	s_waitcnt lgkmcnt(0)
	v_cmp_eq_u32_e32 vcc_lo, v13, v7
	s_and_b32 s25, vcc_lo, exec_lo
	s_or_b32 s11, s11, s25
	s_branch .LBB34_8
.LBB34_11:                              ;   in Loop: Header=BB34_6 Depth=1
	s_inst_prefetch 0x2
	s_or_b32 exec_lo, exec_lo, s6
	s_and_saveexec_b32 s6, s7
	s_xor_b32 s6, exec_lo, s6
	s_cbranch_execz .LBB34_5
; %bb.12:                               ;   in Loop: Header=BB34_6 Depth=1
	v_lshl_add_u32 v7, v12, 2, v0
	ds_write_b32 v7, v6
	s_branch .LBB34_5
.LBB34_13:
	s_or_b32 exec_lo, exec_lo, s0
	v_mov_b32_e32 v17, 0
	v_mov_b32_e32 v18, 0
	s_mov_b32 s3, exec_lo
	s_waitcnt vmcnt(0) lgkmcnt(0)
	buffer_gl0_inv
	v_cmpx_lt_i32_e64 v5, v4
	s_cbranch_execz .LBB34_35
; %bb.14:
	v_mbcnt_lo_u32_b32 v19, -1, 0
	v_add_nc_u32_e32 v20, -1, v4
	v_subrev_nc_u32_e32 v21, s2, v15
	v_cmp_eq_u32_e64 s0, 63, v15
	v_mov_b32_e32 v17, 0
	v_or_b32_e32 v22, 32, v19
	v_xor_b32_e32 v23, 16, v19
	v_xor_b32_e32 v24, 8, v19
	;; [unrolled: 1-line block ×5, first 2 shown]
	v_mov_b32_e32 v18, 0
	s_mov_b32 s6, 0
	s_branch .LBB34_17
.LBB34_15:                              ;   in Loop: Header=BB34_17 Depth=1
	s_or_b32 exec_lo, exec_lo, s7
	v_add_nc_u32_e32 v5, 1, v5
	v_cmp_ge_i32_e32 vcc_lo, v5, v4
	s_orn2_b32 s7, vcc_lo, exec_lo
.LBB34_16:                              ;   in Loop: Header=BB34_17 Depth=1
	s_or_b32 exec_lo, exec_lo, s1
	s_and_b32 s1, exec_lo, s7
	s_or_b32 s6, s1, s6
	s_andn2_b32 exec_lo, exec_lo, s6
	s_cbranch_execz .LBB34_34
.LBB34_17:                              ; =>This Loop Header: Depth=1
                                        ;     Child Loop BB34_18 Depth 2
                                        ;     Child Loop BB34_24 Depth 2
                                        ;       Child Loop BB34_27 Depth 3
	v_ashrrev_i32_e32 v6, 31, v5
	s_mov_b32 s1, 0
	v_lshlrev_b64 v[7:8], 2, v[5:6]
	v_lshlrev_b64 v[9:10], 3, v[5:6]
	v_add_co_u32 v7, vcc_lo, s18, v7
	v_add_co_ci_u32_e64 v8, null, s19, v8, vcc_lo
	v_add_co_u32 v6, vcc_lo, s20, v9
	global_load_dword v7, v[7:8], off
	s_waitcnt vmcnt(0)
	v_subrev_nc_u32_e32 v7, s2, v7
	v_ashrrev_i32_e32 v8, 31, v7
	s_waitcnt lgkmcnt(0)
	v_lshlrev_b64 v[28:29], 2, v[7:8]
	v_add_co_ci_u32_e64 v7, null, s21, v10, vcc_lo
	v_add_co_u32 v10, vcc_lo, s16, v28
	v_add_co_ci_u32_e64 v11, null, s17, v29, vcc_lo
	v_add_co_u32 v12, vcc_lo, s22, v28
	v_add_co_ci_u32_e64 v13, null, s23, v29, vcc_lo
	global_load_dwordx2 v[8:9], v[6:7], off
	global_load_dword v14, v[10:11], off
	global_load_dword v12, v[12:13], off
	v_add_co_u32 v10, vcc_lo, s8, v28
	v_add_co_ci_u32_e64 v11, null, s9, v29, vcc_lo
.LBB34_18:                              ;   Parent Loop BB34_17 Depth=1
                                        ; =>  This Inner Loop Header: Depth=2
	global_load_dword v13, v[10:11], off glc dlc
	s_waitcnt vmcnt(0)
	v_cmp_ne_u32_e32 vcc_lo, 0, v13
	s_or_b32 s1, vcc_lo, s1
	s_andn2_b32 exec_lo, exec_lo, s1
	s_cbranch_execnz .LBB34_18
; %bb.19:                               ;   in Loop: Header=BB34_17 Depth=1
	s_or_b32 exec_lo, exec_lo, s1
	v_cmp_eq_u32_e32 vcc_lo, -1, v12
	buffer_gl1_inv
	buffer_gl0_inv
	s_mov_b32 s7, -1
	v_cndmask_b32_e32 v12, v12, v20, vcc_lo
	v_ashrrev_i32_e32 v13, 31, v12
	v_lshlrev_b64 v[10:11], 3, v[12:13]
	v_add_co_u32 v10, vcc_lo, s20, v10
	v_add_co_ci_u32_e64 v11, null, s21, v11, vcc_lo
	global_load_dwordx2 v[10:11], v[10:11], off
	s_waitcnt vmcnt(0)
	v_cmp_neq_f32_e32 vcc_lo, 0, v10
	v_cmp_neq_f32_e64 s1, 0, v11
	s_or_b32 s10, vcc_lo, s1
	s_and_saveexec_b32 s1, s10
	s_cbranch_execz .LBB34_16
; %bb.20:                               ;   in Loop: Header=BB34_17 Depth=1
	v_add_nc_u32_e32 v13, v21, v14
	v_mov_b32_e32 v28, 0
	v_mov_b32_e32 v29, 0
	s_mov_b32 s7, exec_lo
	v_cmpx_lt_i32_e64 v13, v12
	s_cbranch_execz .LBB34_32
; %bb.21:                               ;   in Loop: Header=BB34_17 Depth=1
	v_mov_b32_e32 v28, 0
	v_mov_b32_e32 v29, 0
	s_mov_b32 s10, 0
	s_branch .LBB34_24
.LBB34_22:                              ;   in Loop: Header=BB34_24 Depth=2
	s_or_b32 exec_lo, exec_lo, s24
.LBB34_23:                              ;   in Loop: Header=BB34_24 Depth=2
	s_or_b32 exec_lo, exec_lo, s11
	v_add_nc_u32_e32 v13, 64, v13
	v_cmp_ge_i32_e32 vcc_lo, v13, v12
	s_or_b32 s10, vcc_lo, s10
	s_andn2_b32 exec_lo, exec_lo, s10
	s_cbranch_execz .LBB34_31
.LBB34_24:                              ;   Parent Loop BB34_17 Depth=1
                                        ; =>  This Loop Header: Depth=2
                                        ;       Child Loop BB34_27 Depth 3
	v_ashrrev_i32_e32 v14, 31, v13
	s_mov_b32 s11, exec_lo
	v_lshlrev_b64 v[30:31], 2, v[13:14]
	v_add_co_u32 v30, vcc_lo, s18, v30
	v_add_co_ci_u32_e64 v31, null, s19, v31, vcc_lo
	global_load_dword v30, v[30:31], off
	s_waitcnt vmcnt(0)
	v_mul_lo_u32 v31, 0x67, v30
	v_and_b32_e32 v33, 0x7f, v31
	v_lshl_add_u32 v31, v33, 2, v16
	ds_read_b32 v32, v31
	s_waitcnt lgkmcnt(0)
	v_cmpx_ne_u32_e32 -1, v32
	s_cbranch_execz .LBB34_23
; %bb.25:                               ;   in Loop: Header=BB34_24 Depth=2
	s_mov_b32 s25, 0
                                        ; implicit-def: $sgpr24
                                        ; implicit-def: $sgpr27
                                        ; implicit-def: $sgpr26
	s_inst_prefetch 0x1
	s_branch .LBB34_27
	.p2align	6
.LBB34_26:                              ;   in Loop: Header=BB34_27 Depth=3
	s_or_b32 exec_lo, exec_lo, s28
	s_and_b32 s28, exec_lo, s27
	s_or_b32 s25, s28, s25
	s_andn2_b32 s24, s24, exec_lo
	s_and_b32 s28, s26, exec_lo
	s_or_b32 s24, s24, s28
	s_andn2_b32 exec_lo, exec_lo, s25
	s_cbranch_execz .LBB34_29
.LBB34_27:                              ;   Parent Loop BB34_17 Depth=1
                                        ;     Parent Loop BB34_24 Depth=2
                                        ; =>    This Inner Loop Header: Depth=3
	v_mov_b32_e32 v31, v33
	v_cmp_ne_u32_e32 vcc_lo, v32, v30
	s_or_b32 s26, s26, exec_lo
	s_or_b32 s27, s27, exec_lo
                                        ; implicit-def: $vgpr33
                                        ; implicit-def: $vgpr32
	s_and_saveexec_b32 s28, vcc_lo
	s_cbranch_execz .LBB34_26
; %bb.28:                               ;   in Loop: Header=BB34_27 Depth=3
	v_add_nc_u32_e32 v32, 1, v31
	s_andn2_b32 s27, s27, exec_lo
	s_andn2_b32 s26, s26, exec_lo
	v_and_b32_e32 v33, 0x7f, v32
	v_lshl_add_u32 v32, v33, 2, v16
	ds_read_b32 v32, v32
	s_waitcnt lgkmcnt(0)
	v_cmp_eq_u32_e32 vcc_lo, -1, v32
	s_and_b32 s29, vcc_lo, exec_lo
	s_or_b32 s27, s27, s29
	s_branch .LBB34_26
.LBB34_29:                              ;   in Loop: Header=BB34_24 Depth=2
	s_inst_prefetch 0x2
	s_or_b32 exec_lo, exec_lo, s25
	s_and_saveexec_b32 s25, s24
	s_xor_b32 s24, exec_lo, s25
	s_cbranch_execz .LBB34_22
; %bb.30:                               ;   in Loop: Header=BB34_24 Depth=2
	v_lshl_add_u32 v30, v31, 2, v0
	v_lshlrev_b64 v[32:33], 3, v[13:14]
	ds_read_b32 v30, v30
	v_add_co_u32 v32, vcc_lo, s20, v32
	v_add_co_ci_u32_e64 v33, null, s21, v33, vcc_lo
	s_waitcnt lgkmcnt(0)
	v_ashrrev_i32_e32 v31, 31, v30
	v_lshlrev_b64 v[30:31], 3, v[30:31]
	v_add_co_u32 v30, vcc_lo, s20, v30
	v_add_co_ci_u32_e64 v31, null, s21, v31, vcc_lo
	s_clause 0x1
	global_load_dwordx2 v[32:33], v[32:33], off
	global_load_dwordx2 v[30:31], v[30:31], off
	s_waitcnt vmcnt(0)
	v_fmac_f32_e32 v29, v32, v30
	v_fmac_f32_e32 v28, v33, v30
	;; [unrolled: 1-line block ×3, first 2 shown]
	v_fma_f32 v28, v32, -v31, v28
	s_branch .LBB34_22
.LBB34_31:                              ;   in Loop: Header=BB34_17 Depth=1
	s_or_b32 exec_lo, exec_lo, s10
.LBB34_32:                              ;   in Loop: Header=BB34_17 Depth=1
	s_or_b32 exec_lo, exec_lo, s7
	v_cmp_gt_i32_e32 vcc_lo, 32, v22
	v_cndmask_b32_e32 v12, v19, v22, vcc_lo
	v_cmp_gt_i32_e32 vcc_lo, 32, v23
	v_lshlrev_b32_e32 v12, 2, v12
	v_cndmask_b32_e32 v14, v19, v23, vcc_lo
	v_cmp_gt_i32_e32 vcc_lo, 32, v24
	ds_bpermute_b32 v13, v12, v29
	ds_bpermute_b32 v12, v12, v28
	v_lshlrev_b32_e32 v14, 2, v14
	s_waitcnt lgkmcnt(1)
	v_add_f32_e32 v13, v29, v13
	s_waitcnt lgkmcnt(0)
	v_add_f32_e32 v12, v28, v12
	v_cndmask_b32_e32 v29, v19, v24, vcc_lo
	v_cmp_gt_i32_e32 vcc_lo, 32, v25
	ds_bpermute_b32 v28, v14, v13
	ds_bpermute_b32 v14, v14, v12
	v_lshlrev_b32_e32 v29, 2, v29
	s_waitcnt lgkmcnt(1)
	v_add_f32_e32 v13, v13, v28
	s_waitcnt lgkmcnt(0)
	v_add_f32_e32 v12, v12, v14
	ds_bpermute_b32 v14, v29, v13
	ds_bpermute_b32 v28, v29, v12
	v_cndmask_b32_e32 v29, v19, v25, vcc_lo
	v_cmp_gt_i32_e32 vcc_lo, 32, v26
	v_lshlrev_b32_e32 v29, 2, v29
	s_waitcnt lgkmcnt(1)
	v_add_f32_e32 v13, v13, v14
	s_waitcnt lgkmcnt(0)
	v_add_f32_e32 v12, v12, v28
	ds_bpermute_b32 v14, v29, v13
	ds_bpermute_b32 v28, v29, v12
	v_cndmask_b32_e32 v29, v19, v26, vcc_lo
	v_cmp_gt_i32_e32 vcc_lo, 32, v27
	v_lshlrev_b32_e32 v29, 2, v29
	s_waitcnt lgkmcnt(1)
	v_add_f32_e32 v13, v13, v14
	s_waitcnt lgkmcnt(0)
	v_add_f32_e32 v14, v12, v28
	ds_bpermute_b32 v12, v29, v13
	ds_bpermute_b32 v28, v29, v14
	v_cndmask_b32_e32 v29, v19, v27, vcc_lo
	v_lshlrev_b32_e32 v29, 2, v29
	s_waitcnt lgkmcnt(1)
	v_add_f32_e32 v12, v13, v12
	s_waitcnt lgkmcnt(0)
	v_add_f32_e32 v14, v14, v28
	ds_bpermute_b32 v13, v29, v12
	ds_bpermute_b32 v28, v29, v14
	s_and_saveexec_b32 s7, s0
	s_cbranch_execz .LBB34_15
; %bb.33:                               ;   in Loop: Header=BB34_17 Depth=1
	v_mul_f32_e32 v29, v11, v11
	s_waitcnt lgkmcnt(0)
	v_add_f32_e32 v14, v14, v28
	v_add_f32_e32 v12, v12, v13
	v_fmac_f32_e32 v29, v10, v10
	v_sub_f32_e32 v12, v8, v12
	v_div_scale_f32 v30, null, v29, v29, 1.0
	v_div_scale_f32 v33, vcc_lo, 1.0, v29, 1.0
	v_rcp_f32_e32 v31, v30
	v_fma_f32 v32, -v30, v31, 1.0
	v_fmac_f32_e32 v31, v32, v31
	v_mul_f32_e32 v32, v33, v31
	v_fma_f32 v34, -v30, v32, v33
	v_fmac_f32_e32 v32, v34, v31
	v_fma_f32 v30, -v30, v32, v33
	v_div_fmas_f32 v30, v30, v31, v32
	v_fma_f32 v31, v10, 0, -v11
	v_fma_f32 v10, 0, v11, v10
	v_sub_f32_e32 v11, v9, v14
	v_div_fixup_f32 v28, v30, v29, 1.0
	v_mul_f32_e32 v9, v31, v28
	v_mul_f32_e32 v10, v10, v28
	v_mul_f32_e64 v8, v9, -v11
	v_mul_f32_e32 v9, v9, v12
	v_fmac_f32_e32 v8, v12, v10
	v_fmac_f32_e32 v9, v11, v10
	;; [unrolled: 1-line block ×4, first 2 shown]
	global_store_dwordx2 v[6:7], v[8:9], off
	v_fmac_f32_e32 v18, v9, v9
	v_fma_f32 v17, v8, -v9, v17
	s_branch .LBB34_15
.LBB34_34:
	s_or_b32 exec_lo, exec_lo, s6
.LBB34_35:
	s_or_b32 exec_lo, exec_lo, s3
	v_cmp_eq_u32_e64 s0, 63, v15
	v_cmp_lt_i32_e32 vcc_lo, -1, v4
	s_and_b32 s1, s0, vcc_lo
	s_and_saveexec_b32 s3, s1
	s_cbranch_execz .LBB34_52
; %bb.36:
	v_mov_b32_e32 v5, 0
	s_load_dwordx2 s[4:5], s[4:5], 0x48
	v_add_nc_u32_e32 v0, s2, v3
	v_lshlrev_b64 v[4:5], 3, v[4:5]
	v_add_co_u32 v4, vcc_lo, s20, v4
	v_add_co_ci_u32_e64 v5, null, s21, v5, vcc_lo
	global_load_dwordx2 v[6:7], v[4:5], off
	s_waitcnt lgkmcnt(0)
	v_mul_f64 v[8:9], s[4:5], s[4:5]
	s_waitcnt vmcnt(0)
	v_sub_f32_e32 v6, v6, v18
	v_sub_f32_e32 v7, v7, v17
	v_cvt_f64_f32_e32 v[10:11], v6
	v_cmp_eq_f32_e64 s1, 0, v7
	v_cmp_ge_f64_e32 vcc_lo, v[8:9], v[10:11]
	s_and_b32 s2, vcc_lo, s1
	s_and_saveexec_b32 s1, s2
	s_cbranch_execz .LBB34_41
; %bb.37:
	s_mov_b32 s4, exec_lo
	s_brev_b32 s2, -2
.LBB34_38:                              ; =>This Inner Loop Header: Depth=1
	s_ff1_i32_b32 s5, s4
	v_readlane_b32 s6, v0, s5
	s_lshl_b32 s5, 1, s5
	s_andn2_b32 s4, s4, s5
	s_min_i32 s2, s2, s6
	s_cmp_lg_u32 s4, 0
	s_cbranch_scc1 .LBB34_38
; %bb.39:
	v_mbcnt_lo_u32_b32 v3, exec_lo, 0
	s_mov_b32 s4, exec_lo
	v_cmpx_eq_u32_e32 0, v3
	s_xor_b32 s4, exec_lo, s4
	s_cbranch_execz .LBB34_41
; %bb.40:
	v_mov_b32_e32 v3, 0
	v_mov_b32_e32 v8, s2
	global_atomic_smin v3, v8, s[14:15]
.LBB34_41:
	s_or_b32 exec_lo, exec_lo, s1
	v_cmp_gt_f32_e32 vcc_lo, 0, v6
                                        ; implicit-def: $vgpr8
	s_mov_b32 s1, exec_lo
	v_cndmask_b32_e64 v3, v6, -v6, vcc_lo
	v_cmp_gt_f32_e32 vcc_lo, 0, v7
	v_cndmask_b32_e64 v6, v7, -v7, vcc_lo
	v_cmpx_ngt_f32_e32 v3, v6
	s_xor_b32 s2, exec_lo, s1
	s_cbranch_execz .LBB34_45
; %bb.42:
	v_mov_b32_e32 v8, 0
	s_mov_b32 s4, exec_lo
	v_cmpx_neq_f32_e32 0, v7
	s_cbranch_execz .LBB34_44
; %bb.43:
	v_div_scale_f32 v7, null, v6, v6, v3
	v_div_scale_f32 v10, vcc_lo, v3, v6, v3
	v_rcp_f32_e32 v8, v7
	v_fma_f32 v9, -v7, v8, 1.0
	v_fmac_f32_e32 v8, v9, v8
	v_mul_f32_e32 v9, v10, v8
	v_fma_f32 v11, -v7, v9, v10
	v_fmac_f32_e32 v9, v11, v8
	v_fma_f32 v7, -v7, v9, v10
	v_div_fmas_f32 v7, v7, v8, v9
	v_div_fixup_f32 v3, v7, v6, v3
	v_fma_f32 v3, v3, v3, 1.0
	v_mul_f32_e32 v7, 0x4f800000, v3
	v_cmp_gt_f32_e32 vcc_lo, 0xf800000, v3
	v_cndmask_b32_e32 v3, v3, v7, vcc_lo
	v_sqrt_f32_e32 v7, v3
	v_add_nc_u32_e32 v8, -1, v7
	v_add_nc_u32_e32 v9, 1, v7
	v_fma_f32 v10, -v8, v7, v3
	v_fma_f32 v11, -v9, v7, v3
	v_cmp_ge_f32_e64 s1, 0, v10
	v_cndmask_b32_e64 v7, v7, v8, s1
	v_cmp_lt_f32_e64 s1, 0, v11
	v_cndmask_b32_e64 v7, v7, v9, s1
	v_mul_f32_e32 v8, 0x37800000, v7
	v_cndmask_b32_e32 v7, v7, v8, vcc_lo
	v_cmp_class_f32_e64 vcc_lo, v3, 0x260
	v_cndmask_b32_e32 v3, v7, v3, vcc_lo
	v_mul_f32_e32 v8, v6, v3
.LBB34_44:
	s_or_b32 exec_lo, exec_lo, s4
                                        ; implicit-def: $vgpr3
                                        ; implicit-def: $vgpr6
.LBB34_45:
	s_andn2_saveexec_b32 s2, s2
	s_cbranch_execz .LBB34_47
; %bb.46:
	v_div_scale_f32 v7, null, v3, v3, v6
	v_div_scale_f32 v10, vcc_lo, v6, v3, v6
	v_rcp_f32_e32 v8, v7
	v_fma_f32 v9, -v7, v8, 1.0
	v_fmac_f32_e32 v8, v9, v8
	v_mul_f32_e32 v9, v10, v8
	v_fma_f32 v11, -v7, v9, v10
	v_fmac_f32_e32 v9, v11, v8
	v_fma_f32 v7, -v7, v9, v10
	v_div_fmas_f32 v7, v7, v8, v9
	v_div_fixup_f32 v6, v7, v3, v6
	v_fma_f32 v6, v6, v6, 1.0
	v_mul_f32_e32 v7, 0x4f800000, v6
	v_cmp_gt_f32_e32 vcc_lo, 0xf800000, v6
	v_cndmask_b32_e32 v6, v6, v7, vcc_lo
	v_sqrt_f32_e32 v7, v6
	v_add_nc_u32_e32 v8, -1, v7
	v_add_nc_u32_e32 v9, 1, v7
	v_fma_f32 v10, -v8, v7, v6
	v_fma_f32 v11, -v9, v7, v6
	v_cmp_ge_f32_e64 s1, 0, v10
	v_cndmask_b32_e64 v7, v7, v8, s1
	v_cmp_lt_f32_e64 s1, 0, v11
	v_cndmask_b32_e64 v7, v7, v9, s1
	v_mul_f32_e32 v8, 0x37800000, v7
	v_cndmask_b32_e32 v7, v7, v8, vcc_lo
	v_cmp_class_f32_e64 vcc_lo, v6, 0x260
	v_cndmask_b32_e32 v6, v7, v6, vcc_lo
	v_mul_f32_e32 v8, v3, v6
.LBB34_47:
	s_or_b32 exec_lo, exec_lo, s2
	v_mul_f32_e32 v3, 0x4f800000, v8
	v_cmp_gt_f32_e32 vcc_lo, 0xf800000, v8
	v_cndmask_b32_e32 v3, v8, v3, vcc_lo
	v_sqrt_f32_e32 v6, v3
	v_add_nc_u32_e32 v7, -1, v6
	v_add_nc_u32_e32 v9, 1, v6
	v_fma_f32 v10, -v7, v6, v3
	v_fma_f32 v11, -v9, v6, v3
	v_cmp_ge_f32_e64 s1, 0, v10
	v_cndmask_b32_e64 v6, v6, v7, s1
	v_cmp_lt_f32_e64 s1, 0, v11
	v_cndmask_b32_e64 v6, v6, v9, s1
	v_mul_f32_e32 v7, 0x37800000, v6
	v_cndmask_b32_e32 v6, v6, v7, vcc_lo
	v_cmp_class_f32_e64 vcc_lo, v3, 0x260
	v_mov_b32_e32 v7, 0
	v_cndmask_b32_e32 v6, v6, v3, vcc_lo
	v_cmp_eq_f32_e32 vcc_lo, 0, v8
	global_store_dwordx2 v[4:5], v[6:7], off
	s_and_b32 exec_lo, exec_lo, vcc_lo
	s_cbranch_execz .LBB34_52
; %bb.48:
	s_mov_b32 s2, exec_lo
	s_brev_b32 s1, -2
.LBB34_49:                              ; =>This Inner Loop Header: Depth=1
	s_ff1_i32_b32 s4, s2
	v_readlane_b32 s5, v0, s4
	s_lshl_b32 s4, 1, s4
	s_andn2_b32 s2, s2, s4
	s_min_i32 s1, s1, s5
	s_cmp_lg_u32 s2, 0
	s_cbranch_scc1 .LBB34_49
; %bb.50:
	v_mbcnt_lo_u32_b32 v0, exec_lo, 0
	s_mov_b32 s2, exec_lo
	v_cmpx_eq_u32_e32 0, v0
	s_xor_b32 s2, exec_lo, s2
	s_cbranch_execz .LBB34_52
; %bb.51:
	v_mov_b32_e32 v0, 0
	v_mov_b32_e32 v3, s1
	global_atomic_smin v0, v3, s[12:13]
.LBB34_52:
	s_or_b32 exec_lo, exec_lo, s3
	s_and_b32 exec_lo, exec_lo, s0
	s_cbranch_execz .LBB34_54
; %bb.53:
	v_add_co_u32 v0, vcc_lo, s8, v1
	v_add_co_ci_u32_e64 v1, null, s9, v2, vcc_lo
	v_mov_b32_e32 v2, 1
	s_waitcnt lgkmcnt(0)
	s_waitcnt_vscnt null, 0x0
	global_store_dword v[0:1], v2, off
.LBB34_54:
	s_endpgm
	.section	.rodata,"a",@progbits
	.p2align	6, 0x0
	.amdhsa_kernel _ZN9rocsparseL18csric0_hash_kernelILj256ELj64ELj2E21rocsparse_complex_numIfEEEviPKiS4_PT2_S4_PiS4_S7_S7_d21rocsparse_index_base_
		.amdhsa_group_segment_fixed_size 4096
		.amdhsa_private_segment_fixed_size 0
		.amdhsa_kernarg_size 84
		.amdhsa_user_sgpr_count 6
		.amdhsa_user_sgpr_private_segment_buffer 1
		.amdhsa_user_sgpr_dispatch_ptr 0
		.amdhsa_user_sgpr_queue_ptr 0
		.amdhsa_user_sgpr_kernarg_segment_ptr 1
		.amdhsa_user_sgpr_dispatch_id 0
		.amdhsa_user_sgpr_flat_scratch_init 0
		.amdhsa_user_sgpr_private_segment_size 0
		.amdhsa_wavefront_size32 1
		.amdhsa_uses_dynamic_stack 0
		.amdhsa_system_sgpr_private_segment_wavefront_offset 0
		.amdhsa_system_sgpr_workgroup_id_x 1
		.amdhsa_system_sgpr_workgroup_id_y 0
		.amdhsa_system_sgpr_workgroup_id_z 0
		.amdhsa_system_sgpr_workgroup_info 0
		.amdhsa_system_vgpr_workitem_id 0
		.amdhsa_next_free_vgpr 35
		.amdhsa_next_free_sgpr 30
		.amdhsa_reserve_vcc 1
		.amdhsa_reserve_flat_scratch 0
		.amdhsa_float_round_mode_32 0
		.amdhsa_float_round_mode_16_64 0
		.amdhsa_float_denorm_mode_32 3
		.amdhsa_float_denorm_mode_16_64 3
		.amdhsa_dx10_clamp 1
		.amdhsa_ieee_mode 1
		.amdhsa_fp16_overflow 0
		.amdhsa_workgroup_processor_mode 1
		.amdhsa_memory_ordered 1
		.amdhsa_forward_progress 1
		.amdhsa_shared_vgpr_count 0
		.amdhsa_exception_fp_ieee_invalid_op 0
		.amdhsa_exception_fp_denorm_src 0
		.amdhsa_exception_fp_ieee_div_zero 0
		.amdhsa_exception_fp_ieee_overflow 0
		.amdhsa_exception_fp_ieee_underflow 0
		.amdhsa_exception_fp_ieee_inexact 0
		.amdhsa_exception_int_div_zero 0
	.end_amdhsa_kernel
	.section	.text._ZN9rocsparseL18csric0_hash_kernelILj256ELj64ELj2E21rocsparse_complex_numIfEEEviPKiS4_PT2_S4_PiS4_S7_S7_d21rocsparse_index_base_,"axG",@progbits,_ZN9rocsparseL18csric0_hash_kernelILj256ELj64ELj2E21rocsparse_complex_numIfEEEviPKiS4_PT2_S4_PiS4_S7_S7_d21rocsparse_index_base_,comdat
.Lfunc_end34:
	.size	_ZN9rocsparseL18csric0_hash_kernelILj256ELj64ELj2E21rocsparse_complex_numIfEEEviPKiS4_PT2_S4_PiS4_S7_S7_d21rocsparse_index_base_, .Lfunc_end34-_ZN9rocsparseL18csric0_hash_kernelILj256ELj64ELj2E21rocsparse_complex_numIfEEEviPKiS4_PT2_S4_PiS4_S7_S7_d21rocsparse_index_base_
                                        ; -- End function
	.set _ZN9rocsparseL18csric0_hash_kernelILj256ELj64ELj2E21rocsparse_complex_numIfEEEviPKiS4_PT2_S4_PiS4_S7_S7_d21rocsparse_index_base_.num_vgpr, 35
	.set _ZN9rocsparseL18csric0_hash_kernelILj256ELj64ELj2E21rocsparse_complex_numIfEEEviPKiS4_PT2_S4_PiS4_S7_S7_d21rocsparse_index_base_.num_agpr, 0
	.set _ZN9rocsparseL18csric0_hash_kernelILj256ELj64ELj2E21rocsparse_complex_numIfEEEviPKiS4_PT2_S4_PiS4_S7_S7_d21rocsparse_index_base_.numbered_sgpr, 30
	.set _ZN9rocsparseL18csric0_hash_kernelILj256ELj64ELj2E21rocsparse_complex_numIfEEEviPKiS4_PT2_S4_PiS4_S7_S7_d21rocsparse_index_base_.num_named_barrier, 0
	.set _ZN9rocsparseL18csric0_hash_kernelILj256ELj64ELj2E21rocsparse_complex_numIfEEEviPKiS4_PT2_S4_PiS4_S7_S7_d21rocsparse_index_base_.private_seg_size, 0
	.set _ZN9rocsparseL18csric0_hash_kernelILj256ELj64ELj2E21rocsparse_complex_numIfEEEviPKiS4_PT2_S4_PiS4_S7_S7_d21rocsparse_index_base_.uses_vcc, 1
	.set _ZN9rocsparseL18csric0_hash_kernelILj256ELj64ELj2E21rocsparse_complex_numIfEEEviPKiS4_PT2_S4_PiS4_S7_S7_d21rocsparse_index_base_.uses_flat_scratch, 0
	.set _ZN9rocsparseL18csric0_hash_kernelILj256ELj64ELj2E21rocsparse_complex_numIfEEEviPKiS4_PT2_S4_PiS4_S7_S7_d21rocsparse_index_base_.has_dyn_sized_stack, 0
	.set _ZN9rocsparseL18csric0_hash_kernelILj256ELj64ELj2E21rocsparse_complex_numIfEEEviPKiS4_PT2_S4_PiS4_S7_S7_d21rocsparse_index_base_.has_recursion, 0
	.set _ZN9rocsparseL18csric0_hash_kernelILj256ELj64ELj2E21rocsparse_complex_numIfEEEviPKiS4_PT2_S4_PiS4_S7_S7_d21rocsparse_index_base_.has_indirect_call, 0
	.section	.AMDGPU.csdata,"",@progbits
; Kernel info:
; codeLenInByte = 2844
; TotalNumSgprs: 32
; NumVgprs: 35
; ScratchSize: 0
; MemoryBound: 0
; FloatMode: 240
; IeeeMode: 1
; LDSByteSize: 4096 bytes/workgroup (compile time only)
; SGPRBlocks: 0
; VGPRBlocks: 4
; NumSGPRsForWavesPerEU: 32
; NumVGPRsForWavesPerEU: 35
; Occupancy: 16
; WaveLimiterHint : 1
; COMPUTE_PGM_RSRC2:SCRATCH_EN: 0
; COMPUTE_PGM_RSRC2:USER_SGPR: 6
; COMPUTE_PGM_RSRC2:TRAP_HANDLER: 0
; COMPUTE_PGM_RSRC2:TGID_X_EN: 1
; COMPUTE_PGM_RSRC2:TGID_Y_EN: 0
; COMPUTE_PGM_RSRC2:TGID_Z_EN: 0
; COMPUTE_PGM_RSRC2:TIDIG_COMP_CNT: 0
	.section	.text._ZN9rocsparseL18csric0_hash_kernelILj256ELj64ELj4E21rocsparse_complex_numIfEEEviPKiS4_PT2_S4_PiS4_S7_S7_d21rocsparse_index_base_,"axG",@progbits,_ZN9rocsparseL18csric0_hash_kernelILj256ELj64ELj4E21rocsparse_complex_numIfEEEviPKiS4_PT2_S4_PiS4_S7_S7_d21rocsparse_index_base_,comdat
	.globl	_ZN9rocsparseL18csric0_hash_kernelILj256ELj64ELj4E21rocsparse_complex_numIfEEEviPKiS4_PT2_S4_PiS4_S7_S7_d21rocsparse_index_base_ ; -- Begin function _ZN9rocsparseL18csric0_hash_kernelILj256ELj64ELj4E21rocsparse_complex_numIfEEEviPKiS4_PT2_S4_PiS4_S7_S7_d21rocsparse_index_base_
	.p2align	8
	.type	_ZN9rocsparseL18csric0_hash_kernelILj256ELj64ELj4E21rocsparse_complex_numIfEEEviPKiS4_PT2_S4_PiS4_S7_S7_d21rocsparse_index_base_,@function
_ZN9rocsparseL18csric0_hash_kernelILj256ELj64ELj4E21rocsparse_complex_numIfEEEviPKiS4_PT2_S4_PiS4_S7_S7_d21rocsparse_index_base_: ; @_ZN9rocsparseL18csric0_hash_kernelILj256ELj64ELj4E21rocsparse_complex_numIfEEEviPKiS4_PT2_S4_PiS4_S7_S7_d21rocsparse_index_base_
; %bb.0:
	s_clause 0x1
	s_load_dwordx8 s[16:23], s[4:5], 0x8
	s_load_dwordx8 s[8:15], s[4:5], 0x28
	v_lshrrev_b32_e32 v1, 6, v0
	v_and_b32_e32 v15, 63, v0
	s_mov_b32 s0, 0
	v_lshlrev_b32_e32 v3, 10, v1
	v_lshlrev_b32_e32 v4, 2, v15
	v_or_b32_e32 v2, 0xffffffc0, v15
	v_or3_b32 v3, v3, v4, 0x1000
	v_mov_b32_e32 v4, -1
.LBB35_1:                               ; =>This Inner Loop Header: Depth=1
	v_add_nc_u32_e32 v2, 64, v2
	ds_write_b32 v3, v4
	v_add_nc_u32_e32 v3, 0x100, v3
	v_cmp_lt_u32_e32 vcc_lo, 0xbf, v2
	s_or_b32 s0, vcc_lo, s0
	s_andn2_b32 exec_lo, exec_lo, s0
	s_cbranch_execnz .LBB35_1
; %bb.2:
	s_or_b32 exec_lo, exec_lo, s0
	s_load_dword s0, s[4:5], 0x0
	s_lshl_b32 s1, s6, 2
	s_waitcnt lgkmcnt(0)
	buffer_gl0_inv
	v_and_or_b32 v1, 0x3fffffc, s1, v1
	v_cmp_gt_i32_e32 vcc_lo, s0, v1
	s_and_saveexec_b32 s0, vcc_lo
	s_cbranch_execz .LBB35_54
; %bb.3:
	v_lshlrev_b32_e32 v1, 2, v1
	s_load_dword s2, s[4:5], 0x50
	v_lshlrev_b32_e32 v0, 4, v0
	s_mov_b32 s0, exec_lo
	global_load_dword v3, v1, s[10:11]
	v_and_b32_e32 v0, 0xc00, v0
	v_or_b32_e32 v16, 0x1000, v0
	s_waitcnt vmcnt(0)
	v_ashrrev_i32_e32 v4, 31, v3
	v_lshlrev_b64 v[1:2], 2, v[3:4]
	v_add_co_u32 v4, vcc_lo, s16, v1
	v_add_co_ci_u32_e64 v5, null, s17, v2, vcc_lo
	v_add_co_u32 v7, vcc_lo, s22, v1
	v_add_co_ci_u32_e64 v8, null, s23, v2, vcc_lo
	global_load_dwordx2 v[5:6], v[4:5], off
	global_load_dword v4, v[7:8], off
	s_waitcnt vmcnt(1) lgkmcnt(0)
	v_subrev_nc_u32_e32 v5, s2, v5
	v_subrev_nc_u32_e32 v8, s2, v6
	v_add_nc_u32_e32 v6, v5, v15
	v_cmpx_lt_i32_e64 v6, v8
	s_cbranch_execz .LBB35_13
; %bb.4:
	v_mov_b32_e32 v9, -1
	s_mov_b32 s1, 0
	s_branch .LBB35_6
.LBB35_5:                               ;   in Loop: Header=BB35_6 Depth=1
	s_or_b32 exec_lo, exec_lo, s3
	v_add_nc_u32_e32 v6, 64, v6
	v_cmp_ge_i32_e32 vcc_lo, v6, v8
	s_or_b32 s1, vcc_lo, s1
	s_andn2_b32 exec_lo, exec_lo, s1
	s_cbranch_execz .LBB35_13
.LBB35_6:                               ; =>This Loop Header: Depth=1
                                        ;     Child Loop BB35_9 Depth 2
	v_ashrrev_i32_e32 v7, 31, v6
	s_mov_b32 s3, exec_lo
	v_lshlrev_b64 v[10:11], 2, v[6:7]
	v_add_co_u32 v10, vcc_lo, s18, v10
	v_add_co_ci_u32_e64 v11, null, s19, v11, vcc_lo
	global_load_dword v7, v[10:11], off
	s_waitcnt vmcnt(0)
	v_mul_lo_u32 v10, 0x67, v7
	v_and_b32_e32 v10, 0xff, v10
	v_lshl_add_u32 v11, v10, 2, v16
	ds_read_b32 v12, v11
	s_waitcnt lgkmcnt(0)
	v_cmpx_ne_u32_e64 v12, v7
	s_cbranch_execz .LBB35_5
; %bb.7:                                ;   in Loop: Header=BB35_6 Depth=1
	s_mov_b32 s6, 0
                                        ; implicit-def: $sgpr7
                                        ; implicit-def: $sgpr11
                                        ; implicit-def: $sgpr10
	s_inst_prefetch 0x1
	s_branch .LBB35_9
	.p2align	6
.LBB35_8:                               ;   in Loop: Header=BB35_9 Depth=2
	s_or_b32 exec_lo, exec_lo, s24
	s_and_b32 s24, exec_lo, s11
	s_or_b32 s6, s24, s6
	s_andn2_b32 s7, s7, exec_lo
	s_and_b32 s24, s10, exec_lo
	s_or_b32 s7, s7, s24
	s_andn2_b32 exec_lo, exec_lo, s6
	s_cbranch_execz .LBB35_11
.LBB35_9:                               ;   Parent Loop BB35_6 Depth=1
                                        ; =>  This Inner Loop Header: Depth=2
	ds_cmpst_rtn_b32 v11, v11, v9, v7
	v_mov_b32_e32 v12, v10
	s_or_b32 s10, s10, exec_lo
	s_or_b32 s11, s11, exec_lo
                                        ; implicit-def: $vgpr10
	s_waitcnt lgkmcnt(0)
	v_cmp_ne_u32_e32 vcc_lo, -1, v11
                                        ; implicit-def: $vgpr11
	s_and_saveexec_b32 s24, vcc_lo
	s_cbranch_execz .LBB35_8
; %bb.10:                               ;   in Loop: Header=BB35_9 Depth=2
	v_add_nc_u32_e32 v10, 1, v12
	s_andn2_b32 s11, s11, exec_lo
	s_andn2_b32 s10, s10, exec_lo
	v_and_b32_e32 v10, 0xff, v10
	v_lshl_add_u32 v11, v10, 2, v16
	ds_read_b32 v13, v11
	s_waitcnt lgkmcnt(0)
	v_cmp_eq_u32_e32 vcc_lo, v13, v7
	s_and_b32 s25, vcc_lo, exec_lo
	s_or_b32 s11, s11, s25
	s_branch .LBB35_8
.LBB35_11:                              ;   in Loop: Header=BB35_6 Depth=1
	s_inst_prefetch 0x2
	s_or_b32 exec_lo, exec_lo, s6
	s_and_saveexec_b32 s6, s7
	s_xor_b32 s6, exec_lo, s6
	s_cbranch_execz .LBB35_5
; %bb.12:                               ;   in Loop: Header=BB35_6 Depth=1
	v_lshl_add_u32 v7, v12, 2, v0
	ds_write_b32 v7, v6
	s_branch .LBB35_5
.LBB35_13:
	s_or_b32 exec_lo, exec_lo, s0
	v_mov_b32_e32 v17, 0
	v_mov_b32_e32 v18, 0
	s_mov_b32 s3, exec_lo
	s_waitcnt vmcnt(0) lgkmcnt(0)
	buffer_gl0_inv
	v_cmpx_lt_i32_e64 v5, v4
	s_cbranch_execz .LBB35_35
; %bb.14:
	v_mbcnt_lo_u32_b32 v19, -1, 0
	v_add_nc_u32_e32 v20, -1, v4
	v_subrev_nc_u32_e32 v21, s2, v15
	v_cmp_eq_u32_e64 s0, 63, v15
	v_mov_b32_e32 v17, 0
	v_or_b32_e32 v22, 32, v19
	v_xor_b32_e32 v23, 16, v19
	v_xor_b32_e32 v24, 8, v19
	;; [unrolled: 1-line block ×5, first 2 shown]
	v_mov_b32_e32 v18, 0
	s_mov_b32 s6, 0
	s_branch .LBB35_17
.LBB35_15:                              ;   in Loop: Header=BB35_17 Depth=1
	s_or_b32 exec_lo, exec_lo, s7
	v_add_nc_u32_e32 v5, 1, v5
	v_cmp_ge_i32_e32 vcc_lo, v5, v4
	s_orn2_b32 s7, vcc_lo, exec_lo
.LBB35_16:                              ;   in Loop: Header=BB35_17 Depth=1
	s_or_b32 exec_lo, exec_lo, s1
	s_and_b32 s1, exec_lo, s7
	s_or_b32 s6, s1, s6
	s_andn2_b32 exec_lo, exec_lo, s6
	s_cbranch_execz .LBB35_34
.LBB35_17:                              ; =>This Loop Header: Depth=1
                                        ;     Child Loop BB35_18 Depth 2
                                        ;     Child Loop BB35_24 Depth 2
                                        ;       Child Loop BB35_27 Depth 3
	v_ashrrev_i32_e32 v6, 31, v5
	s_mov_b32 s1, 0
	v_lshlrev_b64 v[7:8], 2, v[5:6]
	v_lshlrev_b64 v[9:10], 3, v[5:6]
	v_add_co_u32 v7, vcc_lo, s18, v7
	v_add_co_ci_u32_e64 v8, null, s19, v8, vcc_lo
	v_add_co_u32 v6, vcc_lo, s20, v9
	global_load_dword v7, v[7:8], off
	s_waitcnt vmcnt(0)
	v_subrev_nc_u32_e32 v7, s2, v7
	v_ashrrev_i32_e32 v8, 31, v7
	s_waitcnt lgkmcnt(0)
	v_lshlrev_b64 v[28:29], 2, v[7:8]
	v_add_co_ci_u32_e64 v7, null, s21, v10, vcc_lo
	v_add_co_u32 v10, vcc_lo, s16, v28
	v_add_co_ci_u32_e64 v11, null, s17, v29, vcc_lo
	v_add_co_u32 v12, vcc_lo, s22, v28
	v_add_co_ci_u32_e64 v13, null, s23, v29, vcc_lo
	global_load_dwordx2 v[8:9], v[6:7], off
	global_load_dword v14, v[10:11], off
	global_load_dword v12, v[12:13], off
	v_add_co_u32 v10, vcc_lo, s8, v28
	v_add_co_ci_u32_e64 v11, null, s9, v29, vcc_lo
.LBB35_18:                              ;   Parent Loop BB35_17 Depth=1
                                        ; =>  This Inner Loop Header: Depth=2
	global_load_dword v13, v[10:11], off glc dlc
	s_waitcnt vmcnt(0)
	v_cmp_ne_u32_e32 vcc_lo, 0, v13
	s_or_b32 s1, vcc_lo, s1
	s_andn2_b32 exec_lo, exec_lo, s1
	s_cbranch_execnz .LBB35_18
; %bb.19:                               ;   in Loop: Header=BB35_17 Depth=1
	s_or_b32 exec_lo, exec_lo, s1
	v_cmp_eq_u32_e32 vcc_lo, -1, v12
	buffer_gl1_inv
	buffer_gl0_inv
	s_mov_b32 s7, -1
	v_cndmask_b32_e32 v12, v12, v20, vcc_lo
	v_ashrrev_i32_e32 v13, 31, v12
	v_lshlrev_b64 v[10:11], 3, v[12:13]
	v_add_co_u32 v10, vcc_lo, s20, v10
	v_add_co_ci_u32_e64 v11, null, s21, v11, vcc_lo
	global_load_dwordx2 v[10:11], v[10:11], off
	s_waitcnt vmcnt(0)
	v_cmp_neq_f32_e32 vcc_lo, 0, v10
	v_cmp_neq_f32_e64 s1, 0, v11
	s_or_b32 s10, vcc_lo, s1
	s_and_saveexec_b32 s1, s10
	s_cbranch_execz .LBB35_16
; %bb.20:                               ;   in Loop: Header=BB35_17 Depth=1
	v_add_nc_u32_e32 v13, v21, v14
	v_mov_b32_e32 v28, 0
	v_mov_b32_e32 v29, 0
	s_mov_b32 s7, exec_lo
	v_cmpx_lt_i32_e64 v13, v12
	s_cbranch_execz .LBB35_32
; %bb.21:                               ;   in Loop: Header=BB35_17 Depth=1
	v_mov_b32_e32 v28, 0
	v_mov_b32_e32 v29, 0
	s_mov_b32 s10, 0
	s_branch .LBB35_24
.LBB35_22:                              ;   in Loop: Header=BB35_24 Depth=2
	s_or_b32 exec_lo, exec_lo, s24
.LBB35_23:                              ;   in Loop: Header=BB35_24 Depth=2
	s_or_b32 exec_lo, exec_lo, s11
	v_add_nc_u32_e32 v13, 64, v13
	v_cmp_ge_i32_e32 vcc_lo, v13, v12
	s_or_b32 s10, vcc_lo, s10
	s_andn2_b32 exec_lo, exec_lo, s10
	s_cbranch_execz .LBB35_31
.LBB35_24:                              ;   Parent Loop BB35_17 Depth=1
                                        ; =>  This Loop Header: Depth=2
                                        ;       Child Loop BB35_27 Depth 3
	v_ashrrev_i32_e32 v14, 31, v13
	s_mov_b32 s11, exec_lo
	v_lshlrev_b64 v[30:31], 2, v[13:14]
	v_add_co_u32 v30, vcc_lo, s18, v30
	v_add_co_ci_u32_e64 v31, null, s19, v31, vcc_lo
	global_load_dword v30, v[30:31], off
	s_waitcnt vmcnt(0)
	v_mul_lo_u32 v31, 0x67, v30
	v_and_b32_e32 v33, 0xff, v31
	v_lshl_add_u32 v31, v33, 2, v16
	ds_read_b32 v32, v31
	s_waitcnt lgkmcnt(0)
	v_cmpx_ne_u32_e32 -1, v32
	s_cbranch_execz .LBB35_23
; %bb.25:                               ;   in Loop: Header=BB35_24 Depth=2
	s_mov_b32 s25, 0
                                        ; implicit-def: $sgpr24
                                        ; implicit-def: $sgpr27
                                        ; implicit-def: $sgpr26
	s_inst_prefetch 0x1
	s_branch .LBB35_27
	.p2align	6
.LBB35_26:                              ;   in Loop: Header=BB35_27 Depth=3
	s_or_b32 exec_lo, exec_lo, s28
	s_and_b32 s28, exec_lo, s27
	s_or_b32 s25, s28, s25
	s_andn2_b32 s24, s24, exec_lo
	s_and_b32 s28, s26, exec_lo
	s_or_b32 s24, s24, s28
	s_andn2_b32 exec_lo, exec_lo, s25
	s_cbranch_execz .LBB35_29
.LBB35_27:                              ;   Parent Loop BB35_17 Depth=1
                                        ;     Parent Loop BB35_24 Depth=2
                                        ; =>    This Inner Loop Header: Depth=3
	v_mov_b32_e32 v31, v33
	v_cmp_ne_u32_e32 vcc_lo, v32, v30
	s_or_b32 s26, s26, exec_lo
	s_or_b32 s27, s27, exec_lo
                                        ; implicit-def: $vgpr33
                                        ; implicit-def: $vgpr32
	s_and_saveexec_b32 s28, vcc_lo
	s_cbranch_execz .LBB35_26
; %bb.28:                               ;   in Loop: Header=BB35_27 Depth=3
	v_add_nc_u32_e32 v32, 1, v31
	s_andn2_b32 s27, s27, exec_lo
	s_andn2_b32 s26, s26, exec_lo
	v_and_b32_e32 v33, 0xff, v32
	v_lshl_add_u32 v32, v33, 2, v16
	ds_read_b32 v32, v32
	s_waitcnt lgkmcnt(0)
	v_cmp_eq_u32_e32 vcc_lo, -1, v32
	s_and_b32 s29, vcc_lo, exec_lo
	s_or_b32 s27, s27, s29
	s_branch .LBB35_26
.LBB35_29:                              ;   in Loop: Header=BB35_24 Depth=2
	s_inst_prefetch 0x2
	s_or_b32 exec_lo, exec_lo, s25
	s_and_saveexec_b32 s25, s24
	s_xor_b32 s24, exec_lo, s25
	s_cbranch_execz .LBB35_22
; %bb.30:                               ;   in Loop: Header=BB35_24 Depth=2
	v_lshl_add_u32 v30, v31, 2, v0
	v_lshlrev_b64 v[32:33], 3, v[13:14]
	ds_read_b32 v30, v30
	v_add_co_u32 v32, vcc_lo, s20, v32
	v_add_co_ci_u32_e64 v33, null, s21, v33, vcc_lo
	s_waitcnt lgkmcnt(0)
	v_ashrrev_i32_e32 v31, 31, v30
	v_lshlrev_b64 v[30:31], 3, v[30:31]
	v_add_co_u32 v30, vcc_lo, s20, v30
	v_add_co_ci_u32_e64 v31, null, s21, v31, vcc_lo
	s_clause 0x1
	global_load_dwordx2 v[32:33], v[32:33], off
	global_load_dwordx2 v[30:31], v[30:31], off
	s_waitcnt vmcnt(0)
	v_fmac_f32_e32 v29, v32, v30
	v_fmac_f32_e32 v28, v33, v30
	;; [unrolled: 1-line block ×3, first 2 shown]
	v_fma_f32 v28, v32, -v31, v28
	s_branch .LBB35_22
.LBB35_31:                              ;   in Loop: Header=BB35_17 Depth=1
	s_or_b32 exec_lo, exec_lo, s10
.LBB35_32:                              ;   in Loop: Header=BB35_17 Depth=1
	s_or_b32 exec_lo, exec_lo, s7
	v_cmp_gt_i32_e32 vcc_lo, 32, v22
	v_cndmask_b32_e32 v12, v19, v22, vcc_lo
	v_cmp_gt_i32_e32 vcc_lo, 32, v23
	v_lshlrev_b32_e32 v12, 2, v12
	v_cndmask_b32_e32 v14, v19, v23, vcc_lo
	v_cmp_gt_i32_e32 vcc_lo, 32, v24
	ds_bpermute_b32 v13, v12, v29
	ds_bpermute_b32 v12, v12, v28
	v_lshlrev_b32_e32 v14, 2, v14
	s_waitcnt lgkmcnt(1)
	v_add_f32_e32 v13, v29, v13
	s_waitcnt lgkmcnt(0)
	v_add_f32_e32 v12, v28, v12
	v_cndmask_b32_e32 v29, v19, v24, vcc_lo
	v_cmp_gt_i32_e32 vcc_lo, 32, v25
	ds_bpermute_b32 v28, v14, v13
	ds_bpermute_b32 v14, v14, v12
	v_lshlrev_b32_e32 v29, 2, v29
	s_waitcnt lgkmcnt(1)
	v_add_f32_e32 v13, v13, v28
	s_waitcnt lgkmcnt(0)
	v_add_f32_e32 v12, v12, v14
	ds_bpermute_b32 v14, v29, v13
	ds_bpermute_b32 v28, v29, v12
	v_cndmask_b32_e32 v29, v19, v25, vcc_lo
	v_cmp_gt_i32_e32 vcc_lo, 32, v26
	v_lshlrev_b32_e32 v29, 2, v29
	s_waitcnt lgkmcnt(1)
	v_add_f32_e32 v13, v13, v14
	s_waitcnt lgkmcnt(0)
	v_add_f32_e32 v12, v12, v28
	ds_bpermute_b32 v14, v29, v13
	ds_bpermute_b32 v28, v29, v12
	v_cndmask_b32_e32 v29, v19, v26, vcc_lo
	v_cmp_gt_i32_e32 vcc_lo, 32, v27
	v_lshlrev_b32_e32 v29, 2, v29
	s_waitcnt lgkmcnt(1)
	v_add_f32_e32 v13, v13, v14
	s_waitcnt lgkmcnt(0)
	v_add_f32_e32 v14, v12, v28
	ds_bpermute_b32 v12, v29, v13
	ds_bpermute_b32 v28, v29, v14
	v_cndmask_b32_e32 v29, v19, v27, vcc_lo
	v_lshlrev_b32_e32 v29, 2, v29
	s_waitcnt lgkmcnt(1)
	v_add_f32_e32 v12, v13, v12
	s_waitcnt lgkmcnt(0)
	v_add_f32_e32 v14, v14, v28
	ds_bpermute_b32 v13, v29, v12
	ds_bpermute_b32 v28, v29, v14
	s_and_saveexec_b32 s7, s0
	s_cbranch_execz .LBB35_15
; %bb.33:                               ;   in Loop: Header=BB35_17 Depth=1
	v_mul_f32_e32 v29, v11, v11
	s_waitcnt lgkmcnt(0)
	v_add_f32_e32 v14, v14, v28
	v_add_f32_e32 v12, v12, v13
	v_fmac_f32_e32 v29, v10, v10
	v_sub_f32_e32 v12, v8, v12
	v_div_scale_f32 v30, null, v29, v29, 1.0
	v_div_scale_f32 v33, vcc_lo, 1.0, v29, 1.0
	v_rcp_f32_e32 v31, v30
	v_fma_f32 v32, -v30, v31, 1.0
	v_fmac_f32_e32 v31, v32, v31
	v_mul_f32_e32 v32, v33, v31
	v_fma_f32 v34, -v30, v32, v33
	v_fmac_f32_e32 v32, v34, v31
	v_fma_f32 v30, -v30, v32, v33
	v_div_fmas_f32 v30, v30, v31, v32
	v_fma_f32 v31, v10, 0, -v11
	v_fma_f32 v10, 0, v11, v10
	v_sub_f32_e32 v11, v9, v14
	v_div_fixup_f32 v28, v30, v29, 1.0
	v_mul_f32_e32 v9, v31, v28
	v_mul_f32_e32 v10, v10, v28
	v_mul_f32_e64 v8, v9, -v11
	v_mul_f32_e32 v9, v9, v12
	v_fmac_f32_e32 v8, v12, v10
	v_fmac_f32_e32 v9, v11, v10
	;; [unrolled: 1-line block ×4, first 2 shown]
	global_store_dwordx2 v[6:7], v[8:9], off
	v_fmac_f32_e32 v18, v9, v9
	v_fma_f32 v17, v8, -v9, v17
	s_branch .LBB35_15
.LBB35_34:
	s_or_b32 exec_lo, exec_lo, s6
.LBB35_35:
	s_or_b32 exec_lo, exec_lo, s3
	v_cmp_eq_u32_e64 s0, 63, v15
	v_cmp_lt_i32_e32 vcc_lo, -1, v4
	s_and_b32 s1, s0, vcc_lo
	s_and_saveexec_b32 s3, s1
	s_cbranch_execz .LBB35_52
; %bb.36:
	v_mov_b32_e32 v5, 0
	s_load_dwordx2 s[4:5], s[4:5], 0x48
	v_add_nc_u32_e32 v0, s2, v3
	v_lshlrev_b64 v[4:5], 3, v[4:5]
	v_add_co_u32 v4, vcc_lo, s20, v4
	v_add_co_ci_u32_e64 v5, null, s21, v5, vcc_lo
	global_load_dwordx2 v[6:7], v[4:5], off
	s_waitcnt lgkmcnt(0)
	v_mul_f64 v[8:9], s[4:5], s[4:5]
	s_waitcnt vmcnt(0)
	v_sub_f32_e32 v6, v6, v18
	v_sub_f32_e32 v7, v7, v17
	v_cvt_f64_f32_e32 v[10:11], v6
	v_cmp_eq_f32_e64 s1, 0, v7
	v_cmp_ge_f64_e32 vcc_lo, v[8:9], v[10:11]
	s_and_b32 s2, vcc_lo, s1
	s_and_saveexec_b32 s1, s2
	s_cbranch_execz .LBB35_41
; %bb.37:
	s_mov_b32 s4, exec_lo
	s_brev_b32 s2, -2
.LBB35_38:                              ; =>This Inner Loop Header: Depth=1
	s_ff1_i32_b32 s5, s4
	v_readlane_b32 s6, v0, s5
	s_lshl_b32 s5, 1, s5
	s_andn2_b32 s4, s4, s5
	s_min_i32 s2, s2, s6
	s_cmp_lg_u32 s4, 0
	s_cbranch_scc1 .LBB35_38
; %bb.39:
	v_mbcnt_lo_u32_b32 v3, exec_lo, 0
	s_mov_b32 s4, exec_lo
	v_cmpx_eq_u32_e32 0, v3
	s_xor_b32 s4, exec_lo, s4
	s_cbranch_execz .LBB35_41
; %bb.40:
	v_mov_b32_e32 v3, 0
	v_mov_b32_e32 v8, s2
	global_atomic_smin v3, v8, s[14:15]
.LBB35_41:
	s_or_b32 exec_lo, exec_lo, s1
	v_cmp_gt_f32_e32 vcc_lo, 0, v6
                                        ; implicit-def: $vgpr8
	s_mov_b32 s1, exec_lo
	v_cndmask_b32_e64 v3, v6, -v6, vcc_lo
	v_cmp_gt_f32_e32 vcc_lo, 0, v7
	v_cndmask_b32_e64 v6, v7, -v7, vcc_lo
	v_cmpx_ngt_f32_e32 v3, v6
	s_xor_b32 s2, exec_lo, s1
	s_cbranch_execz .LBB35_45
; %bb.42:
	v_mov_b32_e32 v8, 0
	s_mov_b32 s4, exec_lo
	v_cmpx_neq_f32_e32 0, v7
	s_cbranch_execz .LBB35_44
; %bb.43:
	v_div_scale_f32 v7, null, v6, v6, v3
	v_div_scale_f32 v10, vcc_lo, v3, v6, v3
	v_rcp_f32_e32 v8, v7
	v_fma_f32 v9, -v7, v8, 1.0
	v_fmac_f32_e32 v8, v9, v8
	v_mul_f32_e32 v9, v10, v8
	v_fma_f32 v11, -v7, v9, v10
	v_fmac_f32_e32 v9, v11, v8
	v_fma_f32 v7, -v7, v9, v10
	v_div_fmas_f32 v7, v7, v8, v9
	v_div_fixup_f32 v3, v7, v6, v3
	v_fma_f32 v3, v3, v3, 1.0
	v_mul_f32_e32 v7, 0x4f800000, v3
	v_cmp_gt_f32_e32 vcc_lo, 0xf800000, v3
	v_cndmask_b32_e32 v3, v3, v7, vcc_lo
	v_sqrt_f32_e32 v7, v3
	v_add_nc_u32_e32 v8, -1, v7
	v_add_nc_u32_e32 v9, 1, v7
	v_fma_f32 v10, -v8, v7, v3
	v_fma_f32 v11, -v9, v7, v3
	v_cmp_ge_f32_e64 s1, 0, v10
	v_cndmask_b32_e64 v7, v7, v8, s1
	v_cmp_lt_f32_e64 s1, 0, v11
	v_cndmask_b32_e64 v7, v7, v9, s1
	v_mul_f32_e32 v8, 0x37800000, v7
	v_cndmask_b32_e32 v7, v7, v8, vcc_lo
	v_cmp_class_f32_e64 vcc_lo, v3, 0x260
	v_cndmask_b32_e32 v3, v7, v3, vcc_lo
	v_mul_f32_e32 v8, v6, v3
.LBB35_44:
	s_or_b32 exec_lo, exec_lo, s4
                                        ; implicit-def: $vgpr3
                                        ; implicit-def: $vgpr6
.LBB35_45:
	s_andn2_saveexec_b32 s2, s2
	s_cbranch_execz .LBB35_47
; %bb.46:
	v_div_scale_f32 v7, null, v3, v3, v6
	v_div_scale_f32 v10, vcc_lo, v6, v3, v6
	v_rcp_f32_e32 v8, v7
	v_fma_f32 v9, -v7, v8, 1.0
	v_fmac_f32_e32 v8, v9, v8
	v_mul_f32_e32 v9, v10, v8
	v_fma_f32 v11, -v7, v9, v10
	v_fmac_f32_e32 v9, v11, v8
	v_fma_f32 v7, -v7, v9, v10
	v_div_fmas_f32 v7, v7, v8, v9
	v_div_fixup_f32 v6, v7, v3, v6
	v_fma_f32 v6, v6, v6, 1.0
	v_mul_f32_e32 v7, 0x4f800000, v6
	v_cmp_gt_f32_e32 vcc_lo, 0xf800000, v6
	v_cndmask_b32_e32 v6, v6, v7, vcc_lo
	v_sqrt_f32_e32 v7, v6
	v_add_nc_u32_e32 v8, -1, v7
	v_add_nc_u32_e32 v9, 1, v7
	v_fma_f32 v10, -v8, v7, v6
	v_fma_f32 v11, -v9, v7, v6
	v_cmp_ge_f32_e64 s1, 0, v10
	v_cndmask_b32_e64 v7, v7, v8, s1
	v_cmp_lt_f32_e64 s1, 0, v11
	v_cndmask_b32_e64 v7, v7, v9, s1
	v_mul_f32_e32 v8, 0x37800000, v7
	v_cndmask_b32_e32 v7, v7, v8, vcc_lo
	v_cmp_class_f32_e64 vcc_lo, v6, 0x260
	v_cndmask_b32_e32 v6, v7, v6, vcc_lo
	v_mul_f32_e32 v8, v3, v6
.LBB35_47:
	s_or_b32 exec_lo, exec_lo, s2
	v_mul_f32_e32 v3, 0x4f800000, v8
	v_cmp_gt_f32_e32 vcc_lo, 0xf800000, v8
	v_cndmask_b32_e32 v3, v8, v3, vcc_lo
	v_sqrt_f32_e32 v6, v3
	v_add_nc_u32_e32 v7, -1, v6
	v_add_nc_u32_e32 v9, 1, v6
	v_fma_f32 v10, -v7, v6, v3
	v_fma_f32 v11, -v9, v6, v3
	v_cmp_ge_f32_e64 s1, 0, v10
	v_cndmask_b32_e64 v6, v6, v7, s1
	v_cmp_lt_f32_e64 s1, 0, v11
	v_cndmask_b32_e64 v6, v6, v9, s1
	v_mul_f32_e32 v7, 0x37800000, v6
	v_cndmask_b32_e32 v6, v6, v7, vcc_lo
	v_cmp_class_f32_e64 vcc_lo, v3, 0x260
	v_mov_b32_e32 v7, 0
	v_cndmask_b32_e32 v6, v6, v3, vcc_lo
	v_cmp_eq_f32_e32 vcc_lo, 0, v8
	global_store_dwordx2 v[4:5], v[6:7], off
	s_and_b32 exec_lo, exec_lo, vcc_lo
	s_cbranch_execz .LBB35_52
; %bb.48:
	s_mov_b32 s2, exec_lo
	s_brev_b32 s1, -2
.LBB35_49:                              ; =>This Inner Loop Header: Depth=1
	s_ff1_i32_b32 s4, s2
	v_readlane_b32 s5, v0, s4
	s_lshl_b32 s4, 1, s4
	s_andn2_b32 s2, s2, s4
	s_min_i32 s1, s1, s5
	s_cmp_lg_u32 s2, 0
	s_cbranch_scc1 .LBB35_49
; %bb.50:
	v_mbcnt_lo_u32_b32 v0, exec_lo, 0
	s_mov_b32 s2, exec_lo
	v_cmpx_eq_u32_e32 0, v0
	s_xor_b32 s2, exec_lo, s2
	s_cbranch_execz .LBB35_52
; %bb.51:
	v_mov_b32_e32 v0, 0
	v_mov_b32_e32 v3, s1
	global_atomic_smin v0, v3, s[12:13]
.LBB35_52:
	s_or_b32 exec_lo, exec_lo, s3
	s_and_b32 exec_lo, exec_lo, s0
	s_cbranch_execz .LBB35_54
; %bb.53:
	v_add_co_u32 v0, vcc_lo, s8, v1
	v_add_co_ci_u32_e64 v1, null, s9, v2, vcc_lo
	v_mov_b32_e32 v2, 1
	s_waitcnt lgkmcnt(0)
	s_waitcnt_vscnt null, 0x0
	global_store_dword v[0:1], v2, off
.LBB35_54:
	s_endpgm
	.section	.rodata,"a",@progbits
	.p2align	6, 0x0
	.amdhsa_kernel _ZN9rocsparseL18csric0_hash_kernelILj256ELj64ELj4E21rocsparse_complex_numIfEEEviPKiS4_PT2_S4_PiS4_S7_S7_d21rocsparse_index_base_
		.amdhsa_group_segment_fixed_size 8192
		.amdhsa_private_segment_fixed_size 0
		.amdhsa_kernarg_size 84
		.amdhsa_user_sgpr_count 6
		.amdhsa_user_sgpr_private_segment_buffer 1
		.amdhsa_user_sgpr_dispatch_ptr 0
		.amdhsa_user_sgpr_queue_ptr 0
		.amdhsa_user_sgpr_kernarg_segment_ptr 1
		.amdhsa_user_sgpr_dispatch_id 0
		.amdhsa_user_sgpr_flat_scratch_init 0
		.amdhsa_user_sgpr_private_segment_size 0
		.amdhsa_wavefront_size32 1
		.amdhsa_uses_dynamic_stack 0
		.amdhsa_system_sgpr_private_segment_wavefront_offset 0
		.amdhsa_system_sgpr_workgroup_id_x 1
		.amdhsa_system_sgpr_workgroup_id_y 0
		.amdhsa_system_sgpr_workgroup_id_z 0
		.amdhsa_system_sgpr_workgroup_info 0
		.amdhsa_system_vgpr_workitem_id 0
		.amdhsa_next_free_vgpr 35
		.amdhsa_next_free_sgpr 30
		.amdhsa_reserve_vcc 1
		.amdhsa_reserve_flat_scratch 0
		.amdhsa_float_round_mode_32 0
		.amdhsa_float_round_mode_16_64 0
		.amdhsa_float_denorm_mode_32 3
		.amdhsa_float_denorm_mode_16_64 3
		.amdhsa_dx10_clamp 1
		.amdhsa_ieee_mode 1
		.amdhsa_fp16_overflow 0
		.amdhsa_workgroup_processor_mode 1
		.amdhsa_memory_ordered 1
		.amdhsa_forward_progress 1
		.amdhsa_shared_vgpr_count 0
		.amdhsa_exception_fp_ieee_invalid_op 0
		.amdhsa_exception_fp_denorm_src 0
		.amdhsa_exception_fp_ieee_div_zero 0
		.amdhsa_exception_fp_ieee_overflow 0
		.amdhsa_exception_fp_ieee_underflow 0
		.amdhsa_exception_fp_ieee_inexact 0
		.amdhsa_exception_int_div_zero 0
	.end_amdhsa_kernel
	.section	.text._ZN9rocsparseL18csric0_hash_kernelILj256ELj64ELj4E21rocsparse_complex_numIfEEEviPKiS4_PT2_S4_PiS4_S7_S7_d21rocsparse_index_base_,"axG",@progbits,_ZN9rocsparseL18csric0_hash_kernelILj256ELj64ELj4E21rocsparse_complex_numIfEEEviPKiS4_PT2_S4_PiS4_S7_S7_d21rocsparse_index_base_,comdat
.Lfunc_end35:
	.size	_ZN9rocsparseL18csric0_hash_kernelILj256ELj64ELj4E21rocsparse_complex_numIfEEEviPKiS4_PT2_S4_PiS4_S7_S7_d21rocsparse_index_base_, .Lfunc_end35-_ZN9rocsparseL18csric0_hash_kernelILj256ELj64ELj4E21rocsparse_complex_numIfEEEviPKiS4_PT2_S4_PiS4_S7_S7_d21rocsparse_index_base_
                                        ; -- End function
	.set _ZN9rocsparseL18csric0_hash_kernelILj256ELj64ELj4E21rocsparse_complex_numIfEEEviPKiS4_PT2_S4_PiS4_S7_S7_d21rocsparse_index_base_.num_vgpr, 35
	.set _ZN9rocsparseL18csric0_hash_kernelILj256ELj64ELj4E21rocsparse_complex_numIfEEEviPKiS4_PT2_S4_PiS4_S7_S7_d21rocsparse_index_base_.num_agpr, 0
	.set _ZN9rocsparseL18csric0_hash_kernelILj256ELj64ELj4E21rocsparse_complex_numIfEEEviPKiS4_PT2_S4_PiS4_S7_S7_d21rocsparse_index_base_.numbered_sgpr, 30
	.set _ZN9rocsparseL18csric0_hash_kernelILj256ELj64ELj4E21rocsparse_complex_numIfEEEviPKiS4_PT2_S4_PiS4_S7_S7_d21rocsparse_index_base_.num_named_barrier, 0
	.set _ZN9rocsparseL18csric0_hash_kernelILj256ELj64ELj4E21rocsparse_complex_numIfEEEviPKiS4_PT2_S4_PiS4_S7_S7_d21rocsparse_index_base_.private_seg_size, 0
	.set _ZN9rocsparseL18csric0_hash_kernelILj256ELj64ELj4E21rocsparse_complex_numIfEEEviPKiS4_PT2_S4_PiS4_S7_S7_d21rocsparse_index_base_.uses_vcc, 1
	.set _ZN9rocsparseL18csric0_hash_kernelILj256ELj64ELj4E21rocsparse_complex_numIfEEEviPKiS4_PT2_S4_PiS4_S7_S7_d21rocsparse_index_base_.uses_flat_scratch, 0
	.set _ZN9rocsparseL18csric0_hash_kernelILj256ELj64ELj4E21rocsparse_complex_numIfEEEviPKiS4_PT2_S4_PiS4_S7_S7_d21rocsparse_index_base_.has_dyn_sized_stack, 0
	.set _ZN9rocsparseL18csric0_hash_kernelILj256ELj64ELj4E21rocsparse_complex_numIfEEEviPKiS4_PT2_S4_PiS4_S7_S7_d21rocsparse_index_base_.has_recursion, 0
	.set _ZN9rocsparseL18csric0_hash_kernelILj256ELj64ELj4E21rocsparse_complex_numIfEEEviPKiS4_PT2_S4_PiS4_S7_S7_d21rocsparse_index_base_.has_indirect_call, 0
	.section	.AMDGPU.csdata,"",@progbits
; Kernel info:
; codeLenInByte = 2844
; TotalNumSgprs: 32
; NumVgprs: 35
; ScratchSize: 0
; MemoryBound: 0
; FloatMode: 240
; IeeeMode: 1
; LDSByteSize: 8192 bytes/workgroup (compile time only)
; SGPRBlocks: 0
; VGPRBlocks: 4
; NumSGPRsForWavesPerEU: 32
; NumVGPRsForWavesPerEU: 35
; Occupancy: 16
; WaveLimiterHint : 1
; COMPUTE_PGM_RSRC2:SCRATCH_EN: 0
; COMPUTE_PGM_RSRC2:USER_SGPR: 6
; COMPUTE_PGM_RSRC2:TRAP_HANDLER: 0
; COMPUTE_PGM_RSRC2:TGID_X_EN: 1
; COMPUTE_PGM_RSRC2:TGID_Y_EN: 0
; COMPUTE_PGM_RSRC2:TGID_Z_EN: 0
; COMPUTE_PGM_RSRC2:TIDIG_COMP_CNT: 0
	.section	.text._ZN9rocsparseL18csric0_hash_kernelILj256ELj64ELj8E21rocsparse_complex_numIfEEEviPKiS4_PT2_S4_PiS4_S7_S7_d21rocsparse_index_base_,"axG",@progbits,_ZN9rocsparseL18csric0_hash_kernelILj256ELj64ELj8E21rocsparse_complex_numIfEEEviPKiS4_PT2_S4_PiS4_S7_S7_d21rocsparse_index_base_,comdat
	.globl	_ZN9rocsparseL18csric0_hash_kernelILj256ELj64ELj8E21rocsparse_complex_numIfEEEviPKiS4_PT2_S4_PiS4_S7_S7_d21rocsparse_index_base_ ; -- Begin function _ZN9rocsparseL18csric0_hash_kernelILj256ELj64ELj8E21rocsparse_complex_numIfEEEviPKiS4_PT2_S4_PiS4_S7_S7_d21rocsparse_index_base_
	.p2align	8
	.type	_ZN9rocsparseL18csric0_hash_kernelILj256ELj64ELj8E21rocsparse_complex_numIfEEEviPKiS4_PT2_S4_PiS4_S7_S7_d21rocsparse_index_base_,@function
_ZN9rocsparseL18csric0_hash_kernelILj256ELj64ELj8E21rocsparse_complex_numIfEEEviPKiS4_PT2_S4_PiS4_S7_S7_d21rocsparse_index_base_: ; @_ZN9rocsparseL18csric0_hash_kernelILj256ELj64ELj8E21rocsparse_complex_numIfEEEviPKiS4_PT2_S4_PiS4_S7_S7_d21rocsparse_index_base_
; %bb.0:
	s_clause 0x1
	s_load_dwordx8 s[16:23], s[4:5], 0x8
	s_load_dwordx8 s[8:15], s[4:5], 0x28
	v_lshrrev_b32_e32 v1, 6, v0
	v_and_b32_e32 v15, 63, v0
	s_mov_b32 s0, 0
	v_lshlrev_b32_e32 v3, 11, v1
	v_lshlrev_b32_e32 v4, 2, v15
	v_or_b32_e32 v2, 0xffffffc0, v15
	v_or3_b32 v3, v3, v4, 0x2000
	v_mov_b32_e32 v4, -1
.LBB36_1:                               ; =>This Inner Loop Header: Depth=1
	v_add_nc_u32_e32 v2, 64, v2
	ds_write_b32 v3, v4
	v_add_nc_u32_e32 v3, 0x100, v3
	v_cmp_lt_u32_e32 vcc_lo, 0x1bf, v2
	s_or_b32 s0, vcc_lo, s0
	s_andn2_b32 exec_lo, exec_lo, s0
	s_cbranch_execnz .LBB36_1
; %bb.2:
	s_or_b32 exec_lo, exec_lo, s0
	s_load_dword s0, s[4:5], 0x0
	s_lshl_b32 s1, s6, 2
	s_waitcnt lgkmcnt(0)
	buffer_gl0_inv
	v_and_or_b32 v1, 0x3fffffc, s1, v1
	v_cmp_gt_i32_e32 vcc_lo, s0, v1
	s_and_saveexec_b32 s0, vcc_lo
	s_cbranch_execz .LBB36_54
; %bb.3:
	v_lshlrev_b32_e32 v1, 2, v1
	s_load_dword s2, s[4:5], 0x50
	v_lshlrev_b32_e32 v0, 5, v0
	s_mov_b32 s0, exec_lo
	global_load_dword v3, v1, s[10:11]
	v_and_b32_e32 v0, 0x1800, v0
	v_or_b32_e32 v16, 0x2000, v0
	s_waitcnt vmcnt(0)
	v_ashrrev_i32_e32 v4, 31, v3
	v_lshlrev_b64 v[1:2], 2, v[3:4]
	v_add_co_u32 v4, vcc_lo, s16, v1
	v_add_co_ci_u32_e64 v5, null, s17, v2, vcc_lo
	v_add_co_u32 v7, vcc_lo, s22, v1
	v_add_co_ci_u32_e64 v8, null, s23, v2, vcc_lo
	global_load_dwordx2 v[5:6], v[4:5], off
	global_load_dword v4, v[7:8], off
	s_waitcnt vmcnt(1) lgkmcnt(0)
	v_subrev_nc_u32_e32 v5, s2, v5
	v_subrev_nc_u32_e32 v8, s2, v6
	v_add_nc_u32_e32 v6, v5, v15
	v_cmpx_lt_i32_e64 v6, v8
	s_cbranch_execz .LBB36_13
; %bb.4:
	v_mov_b32_e32 v9, -1
	s_mov_b32 s1, 0
	s_branch .LBB36_6
.LBB36_5:                               ;   in Loop: Header=BB36_6 Depth=1
	s_or_b32 exec_lo, exec_lo, s3
	v_add_nc_u32_e32 v6, 64, v6
	v_cmp_ge_i32_e32 vcc_lo, v6, v8
	s_or_b32 s1, vcc_lo, s1
	s_andn2_b32 exec_lo, exec_lo, s1
	s_cbranch_execz .LBB36_13
.LBB36_6:                               ; =>This Loop Header: Depth=1
                                        ;     Child Loop BB36_9 Depth 2
	v_ashrrev_i32_e32 v7, 31, v6
	s_mov_b32 s3, exec_lo
	v_lshlrev_b64 v[10:11], 2, v[6:7]
	v_add_co_u32 v10, vcc_lo, s18, v10
	v_add_co_ci_u32_e64 v11, null, s19, v11, vcc_lo
	global_load_dword v7, v[10:11], off
	s_waitcnt vmcnt(0)
	v_mul_lo_u32 v10, 0x67, v7
	v_and_b32_e32 v10, 0x1ff, v10
	v_lshl_add_u32 v11, v10, 2, v16
	ds_read_b32 v12, v11
	s_waitcnt lgkmcnt(0)
	v_cmpx_ne_u32_e64 v12, v7
	s_cbranch_execz .LBB36_5
; %bb.7:                                ;   in Loop: Header=BB36_6 Depth=1
	s_mov_b32 s6, 0
                                        ; implicit-def: $sgpr7
                                        ; implicit-def: $sgpr11
                                        ; implicit-def: $sgpr10
	s_inst_prefetch 0x1
	s_branch .LBB36_9
	.p2align	6
.LBB36_8:                               ;   in Loop: Header=BB36_9 Depth=2
	s_or_b32 exec_lo, exec_lo, s24
	s_and_b32 s24, exec_lo, s11
	s_or_b32 s6, s24, s6
	s_andn2_b32 s7, s7, exec_lo
	s_and_b32 s24, s10, exec_lo
	s_or_b32 s7, s7, s24
	s_andn2_b32 exec_lo, exec_lo, s6
	s_cbranch_execz .LBB36_11
.LBB36_9:                               ;   Parent Loop BB36_6 Depth=1
                                        ; =>  This Inner Loop Header: Depth=2
	ds_cmpst_rtn_b32 v11, v11, v9, v7
	v_mov_b32_e32 v12, v10
	s_or_b32 s10, s10, exec_lo
	s_or_b32 s11, s11, exec_lo
                                        ; implicit-def: $vgpr10
	s_waitcnt lgkmcnt(0)
	v_cmp_ne_u32_e32 vcc_lo, -1, v11
                                        ; implicit-def: $vgpr11
	s_and_saveexec_b32 s24, vcc_lo
	s_cbranch_execz .LBB36_8
; %bb.10:                               ;   in Loop: Header=BB36_9 Depth=2
	v_add_nc_u32_e32 v10, 1, v12
	s_andn2_b32 s11, s11, exec_lo
	s_andn2_b32 s10, s10, exec_lo
	v_and_b32_e32 v10, 0x1ff, v10
	v_lshl_add_u32 v11, v10, 2, v16
	ds_read_b32 v13, v11
	s_waitcnt lgkmcnt(0)
	v_cmp_eq_u32_e32 vcc_lo, v13, v7
	s_and_b32 s25, vcc_lo, exec_lo
	s_or_b32 s11, s11, s25
	s_branch .LBB36_8
.LBB36_11:                              ;   in Loop: Header=BB36_6 Depth=1
	s_inst_prefetch 0x2
	s_or_b32 exec_lo, exec_lo, s6
	s_and_saveexec_b32 s6, s7
	s_xor_b32 s6, exec_lo, s6
	s_cbranch_execz .LBB36_5
; %bb.12:                               ;   in Loop: Header=BB36_6 Depth=1
	v_lshl_add_u32 v7, v12, 2, v0
	ds_write_b32 v7, v6
	s_branch .LBB36_5
.LBB36_13:
	s_or_b32 exec_lo, exec_lo, s0
	v_mov_b32_e32 v17, 0
	v_mov_b32_e32 v18, 0
	s_mov_b32 s3, exec_lo
	s_waitcnt vmcnt(0) lgkmcnt(0)
	buffer_gl0_inv
	v_cmpx_lt_i32_e64 v5, v4
	s_cbranch_execz .LBB36_35
; %bb.14:
	v_mbcnt_lo_u32_b32 v19, -1, 0
	v_add_nc_u32_e32 v20, -1, v4
	v_subrev_nc_u32_e32 v21, s2, v15
	v_cmp_eq_u32_e64 s0, 63, v15
	v_mov_b32_e32 v17, 0
	v_or_b32_e32 v22, 32, v19
	v_xor_b32_e32 v23, 16, v19
	v_xor_b32_e32 v24, 8, v19
	;; [unrolled: 1-line block ×5, first 2 shown]
	v_mov_b32_e32 v18, 0
	s_mov_b32 s6, 0
	s_branch .LBB36_17
.LBB36_15:                              ;   in Loop: Header=BB36_17 Depth=1
	s_or_b32 exec_lo, exec_lo, s7
	v_add_nc_u32_e32 v5, 1, v5
	v_cmp_ge_i32_e32 vcc_lo, v5, v4
	s_orn2_b32 s7, vcc_lo, exec_lo
.LBB36_16:                              ;   in Loop: Header=BB36_17 Depth=1
	s_or_b32 exec_lo, exec_lo, s1
	s_and_b32 s1, exec_lo, s7
	s_or_b32 s6, s1, s6
	s_andn2_b32 exec_lo, exec_lo, s6
	s_cbranch_execz .LBB36_34
.LBB36_17:                              ; =>This Loop Header: Depth=1
                                        ;     Child Loop BB36_18 Depth 2
                                        ;     Child Loop BB36_24 Depth 2
                                        ;       Child Loop BB36_27 Depth 3
	v_ashrrev_i32_e32 v6, 31, v5
	s_mov_b32 s1, 0
	v_lshlrev_b64 v[7:8], 2, v[5:6]
	v_lshlrev_b64 v[9:10], 3, v[5:6]
	v_add_co_u32 v7, vcc_lo, s18, v7
	v_add_co_ci_u32_e64 v8, null, s19, v8, vcc_lo
	v_add_co_u32 v6, vcc_lo, s20, v9
	global_load_dword v7, v[7:8], off
	s_waitcnt vmcnt(0)
	v_subrev_nc_u32_e32 v7, s2, v7
	v_ashrrev_i32_e32 v8, 31, v7
	s_waitcnt lgkmcnt(0)
	v_lshlrev_b64 v[28:29], 2, v[7:8]
	v_add_co_ci_u32_e64 v7, null, s21, v10, vcc_lo
	v_add_co_u32 v10, vcc_lo, s16, v28
	v_add_co_ci_u32_e64 v11, null, s17, v29, vcc_lo
	v_add_co_u32 v12, vcc_lo, s22, v28
	v_add_co_ci_u32_e64 v13, null, s23, v29, vcc_lo
	global_load_dwordx2 v[8:9], v[6:7], off
	global_load_dword v14, v[10:11], off
	global_load_dword v12, v[12:13], off
	v_add_co_u32 v10, vcc_lo, s8, v28
	v_add_co_ci_u32_e64 v11, null, s9, v29, vcc_lo
.LBB36_18:                              ;   Parent Loop BB36_17 Depth=1
                                        ; =>  This Inner Loop Header: Depth=2
	global_load_dword v13, v[10:11], off glc dlc
	s_waitcnt vmcnt(0)
	v_cmp_ne_u32_e32 vcc_lo, 0, v13
	s_or_b32 s1, vcc_lo, s1
	s_andn2_b32 exec_lo, exec_lo, s1
	s_cbranch_execnz .LBB36_18
; %bb.19:                               ;   in Loop: Header=BB36_17 Depth=1
	s_or_b32 exec_lo, exec_lo, s1
	v_cmp_eq_u32_e32 vcc_lo, -1, v12
	buffer_gl1_inv
	buffer_gl0_inv
	s_mov_b32 s7, -1
	v_cndmask_b32_e32 v12, v12, v20, vcc_lo
	v_ashrrev_i32_e32 v13, 31, v12
	v_lshlrev_b64 v[10:11], 3, v[12:13]
	v_add_co_u32 v10, vcc_lo, s20, v10
	v_add_co_ci_u32_e64 v11, null, s21, v11, vcc_lo
	global_load_dwordx2 v[10:11], v[10:11], off
	s_waitcnt vmcnt(0)
	v_cmp_neq_f32_e32 vcc_lo, 0, v10
	v_cmp_neq_f32_e64 s1, 0, v11
	s_or_b32 s10, vcc_lo, s1
	s_and_saveexec_b32 s1, s10
	s_cbranch_execz .LBB36_16
; %bb.20:                               ;   in Loop: Header=BB36_17 Depth=1
	v_add_nc_u32_e32 v13, v21, v14
	v_mov_b32_e32 v28, 0
	v_mov_b32_e32 v29, 0
	s_mov_b32 s7, exec_lo
	v_cmpx_lt_i32_e64 v13, v12
	s_cbranch_execz .LBB36_32
; %bb.21:                               ;   in Loop: Header=BB36_17 Depth=1
	v_mov_b32_e32 v28, 0
	v_mov_b32_e32 v29, 0
	s_mov_b32 s10, 0
	s_branch .LBB36_24
.LBB36_22:                              ;   in Loop: Header=BB36_24 Depth=2
	s_or_b32 exec_lo, exec_lo, s24
.LBB36_23:                              ;   in Loop: Header=BB36_24 Depth=2
	s_or_b32 exec_lo, exec_lo, s11
	v_add_nc_u32_e32 v13, 64, v13
	v_cmp_ge_i32_e32 vcc_lo, v13, v12
	s_or_b32 s10, vcc_lo, s10
	s_andn2_b32 exec_lo, exec_lo, s10
	s_cbranch_execz .LBB36_31
.LBB36_24:                              ;   Parent Loop BB36_17 Depth=1
                                        ; =>  This Loop Header: Depth=2
                                        ;       Child Loop BB36_27 Depth 3
	v_ashrrev_i32_e32 v14, 31, v13
	s_mov_b32 s11, exec_lo
	v_lshlrev_b64 v[30:31], 2, v[13:14]
	v_add_co_u32 v30, vcc_lo, s18, v30
	v_add_co_ci_u32_e64 v31, null, s19, v31, vcc_lo
	global_load_dword v30, v[30:31], off
	s_waitcnt vmcnt(0)
	v_mul_lo_u32 v31, 0x67, v30
	v_and_b32_e32 v33, 0x1ff, v31
	v_lshl_add_u32 v31, v33, 2, v16
	ds_read_b32 v32, v31
	s_waitcnt lgkmcnt(0)
	v_cmpx_ne_u32_e32 -1, v32
	s_cbranch_execz .LBB36_23
; %bb.25:                               ;   in Loop: Header=BB36_24 Depth=2
	s_mov_b32 s25, 0
                                        ; implicit-def: $sgpr24
                                        ; implicit-def: $sgpr27
                                        ; implicit-def: $sgpr26
	s_inst_prefetch 0x1
	s_branch .LBB36_27
	.p2align	6
.LBB36_26:                              ;   in Loop: Header=BB36_27 Depth=3
	s_or_b32 exec_lo, exec_lo, s28
	s_and_b32 s28, exec_lo, s27
	s_or_b32 s25, s28, s25
	s_andn2_b32 s24, s24, exec_lo
	s_and_b32 s28, s26, exec_lo
	s_or_b32 s24, s24, s28
	s_andn2_b32 exec_lo, exec_lo, s25
	s_cbranch_execz .LBB36_29
.LBB36_27:                              ;   Parent Loop BB36_17 Depth=1
                                        ;     Parent Loop BB36_24 Depth=2
                                        ; =>    This Inner Loop Header: Depth=3
	v_mov_b32_e32 v31, v33
	v_cmp_ne_u32_e32 vcc_lo, v32, v30
	s_or_b32 s26, s26, exec_lo
	s_or_b32 s27, s27, exec_lo
                                        ; implicit-def: $vgpr33
                                        ; implicit-def: $vgpr32
	s_and_saveexec_b32 s28, vcc_lo
	s_cbranch_execz .LBB36_26
; %bb.28:                               ;   in Loop: Header=BB36_27 Depth=3
	v_add_nc_u32_e32 v32, 1, v31
	s_andn2_b32 s27, s27, exec_lo
	s_andn2_b32 s26, s26, exec_lo
	v_and_b32_e32 v33, 0x1ff, v32
	v_lshl_add_u32 v32, v33, 2, v16
	ds_read_b32 v32, v32
	s_waitcnt lgkmcnt(0)
	v_cmp_eq_u32_e32 vcc_lo, -1, v32
	s_and_b32 s29, vcc_lo, exec_lo
	s_or_b32 s27, s27, s29
	s_branch .LBB36_26
.LBB36_29:                              ;   in Loop: Header=BB36_24 Depth=2
	s_inst_prefetch 0x2
	s_or_b32 exec_lo, exec_lo, s25
	s_and_saveexec_b32 s25, s24
	s_xor_b32 s24, exec_lo, s25
	s_cbranch_execz .LBB36_22
; %bb.30:                               ;   in Loop: Header=BB36_24 Depth=2
	v_lshl_add_u32 v30, v31, 2, v0
	v_lshlrev_b64 v[32:33], 3, v[13:14]
	ds_read_b32 v30, v30
	v_add_co_u32 v32, vcc_lo, s20, v32
	v_add_co_ci_u32_e64 v33, null, s21, v33, vcc_lo
	s_waitcnt lgkmcnt(0)
	v_ashrrev_i32_e32 v31, 31, v30
	v_lshlrev_b64 v[30:31], 3, v[30:31]
	v_add_co_u32 v30, vcc_lo, s20, v30
	v_add_co_ci_u32_e64 v31, null, s21, v31, vcc_lo
	s_clause 0x1
	global_load_dwordx2 v[32:33], v[32:33], off
	global_load_dwordx2 v[30:31], v[30:31], off
	s_waitcnt vmcnt(0)
	v_fmac_f32_e32 v29, v32, v30
	v_fmac_f32_e32 v28, v33, v30
	;; [unrolled: 1-line block ×3, first 2 shown]
	v_fma_f32 v28, v32, -v31, v28
	s_branch .LBB36_22
.LBB36_31:                              ;   in Loop: Header=BB36_17 Depth=1
	s_or_b32 exec_lo, exec_lo, s10
.LBB36_32:                              ;   in Loop: Header=BB36_17 Depth=1
	s_or_b32 exec_lo, exec_lo, s7
	v_cmp_gt_i32_e32 vcc_lo, 32, v22
	v_cndmask_b32_e32 v12, v19, v22, vcc_lo
	v_cmp_gt_i32_e32 vcc_lo, 32, v23
	v_lshlrev_b32_e32 v12, 2, v12
	v_cndmask_b32_e32 v14, v19, v23, vcc_lo
	v_cmp_gt_i32_e32 vcc_lo, 32, v24
	ds_bpermute_b32 v13, v12, v29
	ds_bpermute_b32 v12, v12, v28
	v_lshlrev_b32_e32 v14, 2, v14
	s_waitcnt lgkmcnt(1)
	v_add_f32_e32 v13, v29, v13
	s_waitcnt lgkmcnt(0)
	v_add_f32_e32 v12, v28, v12
	v_cndmask_b32_e32 v29, v19, v24, vcc_lo
	v_cmp_gt_i32_e32 vcc_lo, 32, v25
	ds_bpermute_b32 v28, v14, v13
	ds_bpermute_b32 v14, v14, v12
	v_lshlrev_b32_e32 v29, 2, v29
	s_waitcnt lgkmcnt(1)
	v_add_f32_e32 v13, v13, v28
	s_waitcnt lgkmcnt(0)
	v_add_f32_e32 v12, v12, v14
	ds_bpermute_b32 v14, v29, v13
	ds_bpermute_b32 v28, v29, v12
	v_cndmask_b32_e32 v29, v19, v25, vcc_lo
	v_cmp_gt_i32_e32 vcc_lo, 32, v26
	v_lshlrev_b32_e32 v29, 2, v29
	s_waitcnt lgkmcnt(1)
	v_add_f32_e32 v13, v13, v14
	s_waitcnt lgkmcnt(0)
	v_add_f32_e32 v12, v12, v28
	ds_bpermute_b32 v14, v29, v13
	ds_bpermute_b32 v28, v29, v12
	v_cndmask_b32_e32 v29, v19, v26, vcc_lo
	v_cmp_gt_i32_e32 vcc_lo, 32, v27
	v_lshlrev_b32_e32 v29, 2, v29
	s_waitcnt lgkmcnt(1)
	v_add_f32_e32 v13, v13, v14
	s_waitcnt lgkmcnt(0)
	v_add_f32_e32 v14, v12, v28
	ds_bpermute_b32 v12, v29, v13
	ds_bpermute_b32 v28, v29, v14
	v_cndmask_b32_e32 v29, v19, v27, vcc_lo
	v_lshlrev_b32_e32 v29, 2, v29
	s_waitcnt lgkmcnt(1)
	v_add_f32_e32 v12, v13, v12
	s_waitcnt lgkmcnt(0)
	v_add_f32_e32 v14, v14, v28
	ds_bpermute_b32 v13, v29, v12
	ds_bpermute_b32 v28, v29, v14
	s_and_saveexec_b32 s7, s0
	s_cbranch_execz .LBB36_15
; %bb.33:                               ;   in Loop: Header=BB36_17 Depth=1
	v_mul_f32_e32 v29, v11, v11
	s_waitcnt lgkmcnt(0)
	v_add_f32_e32 v14, v14, v28
	v_add_f32_e32 v12, v12, v13
	v_fmac_f32_e32 v29, v10, v10
	v_sub_f32_e32 v12, v8, v12
	v_div_scale_f32 v30, null, v29, v29, 1.0
	v_div_scale_f32 v33, vcc_lo, 1.0, v29, 1.0
	v_rcp_f32_e32 v31, v30
	v_fma_f32 v32, -v30, v31, 1.0
	v_fmac_f32_e32 v31, v32, v31
	v_mul_f32_e32 v32, v33, v31
	v_fma_f32 v34, -v30, v32, v33
	v_fmac_f32_e32 v32, v34, v31
	v_fma_f32 v30, -v30, v32, v33
	v_div_fmas_f32 v30, v30, v31, v32
	v_fma_f32 v31, v10, 0, -v11
	v_fma_f32 v10, 0, v11, v10
	v_sub_f32_e32 v11, v9, v14
	v_div_fixup_f32 v28, v30, v29, 1.0
	v_mul_f32_e32 v9, v31, v28
	v_mul_f32_e32 v10, v10, v28
	v_mul_f32_e64 v8, v9, -v11
	v_mul_f32_e32 v9, v9, v12
	v_fmac_f32_e32 v8, v12, v10
	v_fmac_f32_e32 v9, v11, v10
	;; [unrolled: 1-line block ×4, first 2 shown]
	global_store_dwordx2 v[6:7], v[8:9], off
	v_fmac_f32_e32 v18, v9, v9
	v_fma_f32 v17, v8, -v9, v17
	s_branch .LBB36_15
.LBB36_34:
	s_or_b32 exec_lo, exec_lo, s6
.LBB36_35:
	s_or_b32 exec_lo, exec_lo, s3
	v_cmp_eq_u32_e64 s0, 63, v15
	v_cmp_lt_i32_e32 vcc_lo, -1, v4
	s_and_b32 s1, s0, vcc_lo
	s_and_saveexec_b32 s3, s1
	s_cbranch_execz .LBB36_52
; %bb.36:
	v_mov_b32_e32 v5, 0
	s_load_dwordx2 s[4:5], s[4:5], 0x48
	v_add_nc_u32_e32 v0, s2, v3
	v_lshlrev_b64 v[4:5], 3, v[4:5]
	v_add_co_u32 v4, vcc_lo, s20, v4
	v_add_co_ci_u32_e64 v5, null, s21, v5, vcc_lo
	global_load_dwordx2 v[6:7], v[4:5], off
	s_waitcnt lgkmcnt(0)
	v_mul_f64 v[8:9], s[4:5], s[4:5]
	s_waitcnt vmcnt(0)
	v_sub_f32_e32 v6, v6, v18
	v_sub_f32_e32 v7, v7, v17
	v_cvt_f64_f32_e32 v[10:11], v6
	v_cmp_eq_f32_e64 s1, 0, v7
	v_cmp_ge_f64_e32 vcc_lo, v[8:9], v[10:11]
	s_and_b32 s2, vcc_lo, s1
	s_and_saveexec_b32 s1, s2
	s_cbranch_execz .LBB36_41
; %bb.37:
	s_mov_b32 s4, exec_lo
	s_brev_b32 s2, -2
.LBB36_38:                              ; =>This Inner Loop Header: Depth=1
	s_ff1_i32_b32 s5, s4
	v_readlane_b32 s6, v0, s5
	s_lshl_b32 s5, 1, s5
	s_andn2_b32 s4, s4, s5
	s_min_i32 s2, s2, s6
	s_cmp_lg_u32 s4, 0
	s_cbranch_scc1 .LBB36_38
; %bb.39:
	v_mbcnt_lo_u32_b32 v3, exec_lo, 0
	s_mov_b32 s4, exec_lo
	v_cmpx_eq_u32_e32 0, v3
	s_xor_b32 s4, exec_lo, s4
	s_cbranch_execz .LBB36_41
; %bb.40:
	v_mov_b32_e32 v3, 0
	v_mov_b32_e32 v8, s2
	global_atomic_smin v3, v8, s[14:15]
.LBB36_41:
	s_or_b32 exec_lo, exec_lo, s1
	v_cmp_gt_f32_e32 vcc_lo, 0, v6
                                        ; implicit-def: $vgpr8
	s_mov_b32 s1, exec_lo
	v_cndmask_b32_e64 v3, v6, -v6, vcc_lo
	v_cmp_gt_f32_e32 vcc_lo, 0, v7
	v_cndmask_b32_e64 v6, v7, -v7, vcc_lo
	v_cmpx_ngt_f32_e32 v3, v6
	s_xor_b32 s2, exec_lo, s1
	s_cbranch_execz .LBB36_45
; %bb.42:
	v_mov_b32_e32 v8, 0
	s_mov_b32 s4, exec_lo
	v_cmpx_neq_f32_e32 0, v7
	s_cbranch_execz .LBB36_44
; %bb.43:
	v_div_scale_f32 v7, null, v6, v6, v3
	v_div_scale_f32 v10, vcc_lo, v3, v6, v3
	v_rcp_f32_e32 v8, v7
	v_fma_f32 v9, -v7, v8, 1.0
	v_fmac_f32_e32 v8, v9, v8
	v_mul_f32_e32 v9, v10, v8
	v_fma_f32 v11, -v7, v9, v10
	v_fmac_f32_e32 v9, v11, v8
	v_fma_f32 v7, -v7, v9, v10
	v_div_fmas_f32 v7, v7, v8, v9
	v_div_fixup_f32 v3, v7, v6, v3
	v_fma_f32 v3, v3, v3, 1.0
	v_mul_f32_e32 v7, 0x4f800000, v3
	v_cmp_gt_f32_e32 vcc_lo, 0xf800000, v3
	v_cndmask_b32_e32 v3, v3, v7, vcc_lo
	v_sqrt_f32_e32 v7, v3
	v_add_nc_u32_e32 v8, -1, v7
	v_add_nc_u32_e32 v9, 1, v7
	v_fma_f32 v10, -v8, v7, v3
	v_fma_f32 v11, -v9, v7, v3
	v_cmp_ge_f32_e64 s1, 0, v10
	v_cndmask_b32_e64 v7, v7, v8, s1
	v_cmp_lt_f32_e64 s1, 0, v11
	v_cndmask_b32_e64 v7, v7, v9, s1
	v_mul_f32_e32 v8, 0x37800000, v7
	v_cndmask_b32_e32 v7, v7, v8, vcc_lo
	v_cmp_class_f32_e64 vcc_lo, v3, 0x260
	v_cndmask_b32_e32 v3, v7, v3, vcc_lo
	v_mul_f32_e32 v8, v6, v3
.LBB36_44:
	s_or_b32 exec_lo, exec_lo, s4
                                        ; implicit-def: $vgpr3
                                        ; implicit-def: $vgpr6
.LBB36_45:
	s_andn2_saveexec_b32 s2, s2
	s_cbranch_execz .LBB36_47
; %bb.46:
	v_div_scale_f32 v7, null, v3, v3, v6
	v_div_scale_f32 v10, vcc_lo, v6, v3, v6
	v_rcp_f32_e32 v8, v7
	v_fma_f32 v9, -v7, v8, 1.0
	v_fmac_f32_e32 v8, v9, v8
	v_mul_f32_e32 v9, v10, v8
	v_fma_f32 v11, -v7, v9, v10
	v_fmac_f32_e32 v9, v11, v8
	v_fma_f32 v7, -v7, v9, v10
	v_div_fmas_f32 v7, v7, v8, v9
	v_div_fixup_f32 v6, v7, v3, v6
	v_fma_f32 v6, v6, v6, 1.0
	v_mul_f32_e32 v7, 0x4f800000, v6
	v_cmp_gt_f32_e32 vcc_lo, 0xf800000, v6
	v_cndmask_b32_e32 v6, v6, v7, vcc_lo
	v_sqrt_f32_e32 v7, v6
	v_add_nc_u32_e32 v8, -1, v7
	v_add_nc_u32_e32 v9, 1, v7
	v_fma_f32 v10, -v8, v7, v6
	v_fma_f32 v11, -v9, v7, v6
	v_cmp_ge_f32_e64 s1, 0, v10
	v_cndmask_b32_e64 v7, v7, v8, s1
	v_cmp_lt_f32_e64 s1, 0, v11
	v_cndmask_b32_e64 v7, v7, v9, s1
	v_mul_f32_e32 v8, 0x37800000, v7
	v_cndmask_b32_e32 v7, v7, v8, vcc_lo
	v_cmp_class_f32_e64 vcc_lo, v6, 0x260
	v_cndmask_b32_e32 v6, v7, v6, vcc_lo
	v_mul_f32_e32 v8, v3, v6
.LBB36_47:
	s_or_b32 exec_lo, exec_lo, s2
	v_mul_f32_e32 v3, 0x4f800000, v8
	v_cmp_gt_f32_e32 vcc_lo, 0xf800000, v8
	v_cndmask_b32_e32 v3, v8, v3, vcc_lo
	v_sqrt_f32_e32 v6, v3
	v_add_nc_u32_e32 v7, -1, v6
	v_add_nc_u32_e32 v9, 1, v6
	v_fma_f32 v10, -v7, v6, v3
	v_fma_f32 v11, -v9, v6, v3
	v_cmp_ge_f32_e64 s1, 0, v10
	v_cndmask_b32_e64 v6, v6, v7, s1
	v_cmp_lt_f32_e64 s1, 0, v11
	v_cndmask_b32_e64 v6, v6, v9, s1
	v_mul_f32_e32 v7, 0x37800000, v6
	v_cndmask_b32_e32 v6, v6, v7, vcc_lo
	v_cmp_class_f32_e64 vcc_lo, v3, 0x260
	v_mov_b32_e32 v7, 0
	v_cndmask_b32_e32 v6, v6, v3, vcc_lo
	v_cmp_eq_f32_e32 vcc_lo, 0, v8
	global_store_dwordx2 v[4:5], v[6:7], off
	s_and_b32 exec_lo, exec_lo, vcc_lo
	s_cbranch_execz .LBB36_52
; %bb.48:
	s_mov_b32 s2, exec_lo
	s_brev_b32 s1, -2
.LBB36_49:                              ; =>This Inner Loop Header: Depth=1
	s_ff1_i32_b32 s4, s2
	v_readlane_b32 s5, v0, s4
	s_lshl_b32 s4, 1, s4
	s_andn2_b32 s2, s2, s4
	s_min_i32 s1, s1, s5
	s_cmp_lg_u32 s2, 0
	s_cbranch_scc1 .LBB36_49
; %bb.50:
	v_mbcnt_lo_u32_b32 v0, exec_lo, 0
	s_mov_b32 s2, exec_lo
	v_cmpx_eq_u32_e32 0, v0
	s_xor_b32 s2, exec_lo, s2
	s_cbranch_execz .LBB36_52
; %bb.51:
	v_mov_b32_e32 v0, 0
	v_mov_b32_e32 v3, s1
	global_atomic_smin v0, v3, s[12:13]
.LBB36_52:
	s_or_b32 exec_lo, exec_lo, s3
	s_and_b32 exec_lo, exec_lo, s0
	s_cbranch_execz .LBB36_54
; %bb.53:
	v_add_co_u32 v0, vcc_lo, s8, v1
	v_add_co_ci_u32_e64 v1, null, s9, v2, vcc_lo
	v_mov_b32_e32 v2, 1
	s_waitcnt lgkmcnt(0)
	s_waitcnt_vscnt null, 0x0
	global_store_dword v[0:1], v2, off
.LBB36_54:
	s_endpgm
	.section	.rodata,"a",@progbits
	.p2align	6, 0x0
	.amdhsa_kernel _ZN9rocsparseL18csric0_hash_kernelILj256ELj64ELj8E21rocsparse_complex_numIfEEEviPKiS4_PT2_S4_PiS4_S7_S7_d21rocsparse_index_base_
		.amdhsa_group_segment_fixed_size 16384
		.amdhsa_private_segment_fixed_size 0
		.amdhsa_kernarg_size 84
		.amdhsa_user_sgpr_count 6
		.amdhsa_user_sgpr_private_segment_buffer 1
		.amdhsa_user_sgpr_dispatch_ptr 0
		.amdhsa_user_sgpr_queue_ptr 0
		.amdhsa_user_sgpr_kernarg_segment_ptr 1
		.amdhsa_user_sgpr_dispatch_id 0
		.amdhsa_user_sgpr_flat_scratch_init 0
		.amdhsa_user_sgpr_private_segment_size 0
		.amdhsa_wavefront_size32 1
		.amdhsa_uses_dynamic_stack 0
		.amdhsa_system_sgpr_private_segment_wavefront_offset 0
		.amdhsa_system_sgpr_workgroup_id_x 1
		.amdhsa_system_sgpr_workgroup_id_y 0
		.amdhsa_system_sgpr_workgroup_id_z 0
		.amdhsa_system_sgpr_workgroup_info 0
		.amdhsa_system_vgpr_workitem_id 0
		.amdhsa_next_free_vgpr 35
		.amdhsa_next_free_sgpr 30
		.amdhsa_reserve_vcc 1
		.amdhsa_reserve_flat_scratch 0
		.amdhsa_float_round_mode_32 0
		.amdhsa_float_round_mode_16_64 0
		.amdhsa_float_denorm_mode_32 3
		.amdhsa_float_denorm_mode_16_64 3
		.amdhsa_dx10_clamp 1
		.amdhsa_ieee_mode 1
		.amdhsa_fp16_overflow 0
		.amdhsa_workgroup_processor_mode 1
		.amdhsa_memory_ordered 1
		.amdhsa_forward_progress 1
		.amdhsa_shared_vgpr_count 0
		.amdhsa_exception_fp_ieee_invalid_op 0
		.amdhsa_exception_fp_denorm_src 0
		.amdhsa_exception_fp_ieee_div_zero 0
		.amdhsa_exception_fp_ieee_overflow 0
		.amdhsa_exception_fp_ieee_underflow 0
		.amdhsa_exception_fp_ieee_inexact 0
		.amdhsa_exception_int_div_zero 0
	.end_amdhsa_kernel
	.section	.text._ZN9rocsparseL18csric0_hash_kernelILj256ELj64ELj8E21rocsparse_complex_numIfEEEviPKiS4_PT2_S4_PiS4_S7_S7_d21rocsparse_index_base_,"axG",@progbits,_ZN9rocsparseL18csric0_hash_kernelILj256ELj64ELj8E21rocsparse_complex_numIfEEEviPKiS4_PT2_S4_PiS4_S7_S7_d21rocsparse_index_base_,comdat
.Lfunc_end36:
	.size	_ZN9rocsparseL18csric0_hash_kernelILj256ELj64ELj8E21rocsparse_complex_numIfEEEviPKiS4_PT2_S4_PiS4_S7_S7_d21rocsparse_index_base_, .Lfunc_end36-_ZN9rocsparseL18csric0_hash_kernelILj256ELj64ELj8E21rocsparse_complex_numIfEEEviPKiS4_PT2_S4_PiS4_S7_S7_d21rocsparse_index_base_
                                        ; -- End function
	.set _ZN9rocsparseL18csric0_hash_kernelILj256ELj64ELj8E21rocsparse_complex_numIfEEEviPKiS4_PT2_S4_PiS4_S7_S7_d21rocsparse_index_base_.num_vgpr, 35
	.set _ZN9rocsparseL18csric0_hash_kernelILj256ELj64ELj8E21rocsparse_complex_numIfEEEviPKiS4_PT2_S4_PiS4_S7_S7_d21rocsparse_index_base_.num_agpr, 0
	.set _ZN9rocsparseL18csric0_hash_kernelILj256ELj64ELj8E21rocsparse_complex_numIfEEEviPKiS4_PT2_S4_PiS4_S7_S7_d21rocsparse_index_base_.numbered_sgpr, 30
	.set _ZN9rocsparseL18csric0_hash_kernelILj256ELj64ELj8E21rocsparse_complex_numIfEEEviPKiS4_PT2_S4_PiS4_S7_S7_d21rocsparse_index_base_.num_named_barrier, 0
	.set _ZN9rocsparseL18csric0_hash_kernelILj256ELj64ELj8E21rocsparse_complex_numIfEEEviPKiS4_PT2_S4_PiS4_S7_S7_d21rocsparse_index_base_.private_seg_size, 0
	.set _ZN9rocsparseL18csric0_hash_kernelILj256ELj64ELj8E21rocsparse_complex_numIfEEEviPKiS4_PT2_S4_PiS4_S7_S7_d21rocsparse_index_base_.uses_vcc, 1
	.set _ZN9rocsparseL18csric0_hash_kernelILj256ELj64ELj8E21rocsparse_complex_numIfEEEviPKiS4_PT2_S4_PiS4_S7_S7_d21rocsparse_index_base_.uses_flat_scratch, 0
	.set _ZN9rocsparseL18csric0_hash_kernelILj256ELj64ELj8E21rocsparse_complex_numIfEEEviPKiS4_PT2_S4_PiS4_S7_S7_d21rocsparse_index_base_.has_dyn_sized_stack, 0
	.set _ZN9rocsparseL18csric0_hash_kernelILj256ELj64ELj8E21rocsparse_complex_numIfEEEviPKiS4_PT2_S4_PiS4_S7_S7_d21rocsparse_index_base_.has_recursion, 0
	.set _ZN9rocsparseL18csric0_hash_kernelILj256ELj64ELj8E21rocsparse_complex_numIfEEEviPKiS4_PT2_S4_PiS4_S7_S7_d21rocsparse_index_base_.has_indirect_call, 0
	.section	.AMDGPU.csdata,"",@progbits
; Kernel info:
; codeLenInByte = 2844
; TotalNumSgprs: 32
; NumVgprs: 35
; ScratchSize: 0
; MemoryBound: 0
; FloatMode: 240
; IeeeMode: 1
; LDSByteSize: 16384 bytes/workgroup (compile time only)
; SGPRBlocks: 0
; VGPRBlocks: 4
; NumSGPRsForWavesPerEU: 32
; NumVGPRsForWavesPerEU: 35
; Occupancy: 16
; WaveLimiterHint : 1
; COMPUTE_PGM_RSRC2:SCRATCH_EN: 0
; COMPUTE_PGM_RSRC2:USER_SGPR: 6
; COMPUTE_PGM_RSRC2:TRAP_HANDLER: 0
; COMPUTE_PGM_RSRC2:TGID_X_EN: 1
; COMPUTE_PGM_RSRC2:TGID_Y_EN: 0
; COMPUTE_PGM_RSRC2:TGID_Z_EN: 0
; COMPUTE_PGM_RSRC2:TIDIG_COMP_CNT: 0
	.section	.text._ZN9rocsparseL18csric0_hash_kernelILj256ELj64ELj16E21rocsparse_complex_numIfEEEviPKiS4_PT2_S4_PiS4_S7_S7_d21rocsparse_index_base_,"axG",@progbits,_ZN9rocsparseL18csric0_hash_kernelILj256ELj64ELj16E21rocsparse_complex_numIfEEEviPKiS4_PT2_S4_PiS4_S7_S7_d21rocsparse_index_base_,comdat
	.globl	_ZN9rocsparseL18csric0_hash_kernelILj256ELj64ELj16E21rocsparse_complex_numIfEEEviPKiS4_PT2_S4_PiS4_S7_S7_d21rocsparse_index_base_ ; -- Begin function _ZN9rocsparseL18csric0_hash_kernelILj256ELj64ELj16E21rocsparse_complex_numIfEEEviPKiS4_PT2_S4_PiS4_S7_S7_d21rocsparse_index_base_
	.p2align	8
	.type	_ZN9rocsparseL18csric0_hash_kernelILj256ELj64ELj16E21rocsparse_complex_numIfEEEviPKiS4_PT2_S4_PiS4_S7_S7_d21rocsparse_index_base_,@function
_ZN9rocsparseL18csric0_hash_kernelILj256ELj64ELj16E21rocsparse_complex_numIfEEEviPKiS4_PT2_S4_PiS4_S7_S7_d21rocsparse_index_base_: ; @_ZN9rocsparseL18csric0_hash_kernelILj256ELj64ELj16E21rocsparse_complex_numIfEEEviPKiS4_PT2_S4_PiS4_S7_S7_d21rocsparse_index_base_
; %bb.0:
	s_clause 0x1
	s_load_dwordx8 s[16:23], s[4:5], 0x8
	s_load_dwordx8 s[8:15], s[4:5], 0x28
	v_lshrrev_b32_e32 v1, 6, v0
	v_and_b32_e32 v15, 63, v0
	s_mov_b32 s0, 0
	v_lshlrev_b32_e32 v3, 12, v1
	v_lshlrev_b32_e32 v4, 2, v15
	v_or_b32_e32 v2, 0xffffffc0, v15
	v_or3_b32 v3, v3, v4, 0x4000
	v_mov_b32_e32 v4, -1
.LBB37_1:                               ; =>This Inner Loop Header: Depth=1
	v_add_nc_u32_e32 v2, 64, v2
	ds_write_b32 v3, v4
	v_add_nc_u32_e32 v3, 0x100, v3
	v_cmp_lt_u32_e32 vcc_lo, 0x3bf, v2
	s_or_b32 s0, vcc_lo, s0
	s_andn2_b32 exec_lo, exec_lo, s0
	s_cbranch_execnz .LBB37_1
; %bb.2:
	s_or_b32 exec_lo, exec_lo, s0
	s_load_dword s0, s[4:5], 0x0
	s_lshl_b32 s1, s6, 2
	s_waitcnt lgkmcnt(0)
	buffer_gl0_inv
	v_and_or_b32 v1, 0x3fffffc, s1, v1
	v_cmp_gt_i32_e32 vcc_lo, s0, v1
	s_and_saveexec_b32 s0, vcc_lo
	s_cbranch_execz .LBB37_54
; %bb.3:
	v_lshlrev_b32_e32 v1, 2, v1
	s_load_dword s2, s[4:5], 0x50
	v_lshlrev_b32_e32 v0, 6, v0
	s_mov_b32 s0, exec_lo
	global_load_dword v3, v1, s[10:11]
	v_and_b32_e32 v0, 0x3000, v0
	v_or_b32_e32 v16, 0x4000, v0
	s_waitcnt vmcnt(0)
	v_ashrrev_i32_e32 v4, 31, v3
	v_lshlrev_b64 v[1:2], 2, v[3:4]
	v_add_co_u32 v4, vcc_lo, s16, v1
	v_add_co_ci_u32_e64 v5, null, s17, v2, vcc_lo
	v_add_co_u32 v7, vcc_lo, s22, v1
	v_add_co_ci_u32_e64 v8, null, s23, v2, vcc_lo
	global_load_dwordx2 v[5:6], v[4:5], off
	global_load_dword v4, v[7:8], off
	s_waitcnt vmcnt(1) lgkmcnt(0)
	v_subrev_nc_u32_e32 v5, s2, v5
	v_subrev_nc_u32_e32 v8, s2, v6
	v_add_nc_u32_e32 v6, v5, v15
	v_cmpx_lt_i32_e64 v6, v8
	s_cbranch_execz .LBB37_13
; %bb.4:
	v_mov_b32_e32 v9, -1
	s_mov_b32 s1, 0
	s_branch .LBB37_6
.LBB37_5:                               ;   in Loop: Header=BB37_6 Depth=1
	s_or_b32 exec_lo, exec_lo, s3
	v_add_nc_u32_e32 v6, 64, v6
	v_cmp_ge_i32_e32 vcc_lo, v6, v8
	s_or_b32 s1, vcc_lo, s1
	s_andn2_b32 exec_lo, exec_lo, s1
	s_cbranch_execz .LBB37_13
.LBB37_6:                               ; =>This Loop Header: Depth=1
                                        ;     Child Loop BB37_9 Depth 2
	v_ashrrev_i32_e32 v7, 31, v6
	s_mov_b32 s3, exec_lo
	v_lshlrev_b64 v[10:11], 2, v[6:7]
	v_add_co_u32 v10, vcc_lo, s18, v10
	v_add_co_ci_u32_e64 v11, null, s19, v11, vcc_lo
	global_load_dword v7, v[10:11], off
	s_waitcnt vmcnt(0)
	v_mul_lo_u32 v10, 0x67, v7
	v_and_b32_e32 v10, 0x3ff, v10
	v_lshl_add_u32 v11, v10, 2, v16
	ds_read_b32 v12, v11
	s_waitcnt lgkmcnt(0)
	v_cmpx_ne_u32_e64 v12, v7
	s_cbranch_execz .LBB37_5
; %bb.7:                                ;   in Loop: Header=BB37_6 Depth=1
	s_mov_b32 s6, 0
                                        ; implicit-def: $sgpr7
                                        ; implicit-def: $sgpr11
                                        ; implicit-def: $sgpr10
	s_inst_prefetch 0x1
	s_branch .LBB37_9
	.p2align	6
.LBB37_8:                               ;   in Loop: Header=BB37_9 Depth=2
	s_or_b32 exec_lo, exec_lo, s24
	s_and_b32 s24, exec_lo, s11
	s_or_b32 s6, s24, s6
	s_andn2_b32 s7, s7, exec_lo
	s_and_b32 s24, s10, exec_lo
	s_or_b32 s7, s7, s24
	s_andn2_b32 exec_lo, exec_lo, s6
	s_cbranch_execz .LBB37_11
.LBB37_9:                               ;   Parent Loop BB37_6 Depth=1
                                        ; =>  This Inner Loop Header: Depth=2
	ds_cmpst_rtn_b32 v11, v11, v9, v7
	v_mov_b32_e32 v12, v10
	s_or_b32 s10, s10, exec_lo
	s_or_b32 s11, s11, exec_lo
                                        ; implicit-def: $vgpr10
	s_waitcnt lgkmcnt(0)
	v_cmp_ne_u32_e32 vcc_lo, -1, v11
                                        ; implicit-def: $vgpr11
	s_and_saveexec_b32 s24, vcc_lo
	s_cbranch_execz .LBB37_8
; %bb.10:                               ;   in Loop: Header=BB37_9 Depth=2
	v_add_nc_u32_e32 v10, 1, v12
	s_andn2_b32 s11, s11, exec_lo
	s_andn2_b32 s10, s10, exec_lo
	v_and_b32_e32 v10, 0x3ff, v10
	v_lshl_add_u32 v11, v10, 2, v16
	ds_read_b32 v13, v11
	s_waitcnt lgkmcnt(0)
	v_cmp_eq_u32_e32 vcc_lo, v13, v7
	s_and_b32 s25, vcc_lo, exec_lo
	s_or_b32 s11, s11, s25
	s_branch .LBB37_8
.LBB37_11:                              ;   in Loop: Header=BB37_6 Depth=1
	s_inst_prefetch 0x2
	s_or_b32 exec_lo, exec_lo, s6
	s_and_saveexec_b32 s6, s7
	s_xor_b32 s6, exec_lo, s6
	s_cbranch_execz .LBB37_5
; %bb.12:                               ;   in Loop: Header=BB37_6 Depth=1
	v_lshl_add_u32 v7, v12, 2, v0
	ds_write_b32 v7, v6
	s_branch .LBB37_5
.LBB37_13:
	s_or_b32 exec_lo, exec_lo, s0
	v_mov_b32_e32 v17, 0
	v_mov_b32_e32 v18, 0
	s_mov_b32 s3, exec_lo
	s_waitcnt vmcnt(0) lgkmcnt(0)
	buffer_gl0_inv
	v_cmpx_lt_i32_e64 v5, v4
	s_cbranch_execz .LBB37_35
; %bb.14:
	v_mbcnt_lo_u32_b32 v19, -1, 0
	v_add_nc_u32_e32 v20, -1, v4
	v_subrev_nc_u32_e32 v21, s2, v15
	v_cmp_eq_u32_e64 s0, 63, v15
	v_mov_b32_e32 v17, 0
	v_or_b32_e32 v22, 32, v19
	v_xor_b32_e32 v23, 16, v19
	v_xor_b32_e32 v24, 8, v19
	;; [unrolled: 1-line block ×5, first 2 shown]
	v_mov_b32_e32 v18, 0
	s_mov_b32 s6, 0
	s_branch .LBB37_17
.LBB37_15:                              ;   in Loop: Header=BB37_17 Depth=1
	s_or_b32 exec_lo, exec_lo, s7
	v_add_nc_u32_e32 v5, 1, v5
	v_cmp_ge_i32_e32 vcc_lo, v5, v4
	s_orn2_b32 s7, vcc_lo, exec_lo
.LBB37_16:                              ;   in Loop: Header=BB37_17 Depth=1
	s_or_b32 exec_lo, exec_lo, s1
	s_and_b32 s1, exec_lo, s7
	s_or_b32 s6, s1, s6
	s_andn2_b32 exec_lo, exec_lo, s6
	s_cbranch_execz .LBB37_34
.LBB37_17:                              ; =>This Loop Header: Depth=1
                                        ;     Child Loop BB37_18 Depth 2
                                        ;     Child Loop BB37_24 Depth 2
                                        ;       Child Loop BB37_27 Depth 3
	v_ashrrev_i32_e32 v6, 31, v5
	s_mov_b32 s1, 0
	v_lshlrev_b64 v[7:8], 2, v[5:6]
	v_lshlrev_b64 v[9:10], 3, v[5:6]
	v_add_co_u32 v7, vcc_lo, s18, v7
	v_add_co_ci_u32_e64 v8, null, s19, v8, vcc_lo
	v_add_co_u32 v6, vcc_lo, s20, v9
	global_load_dword v7, v[7:8], off
	s_waitcnt vmcnt(0)
	v_subrev_nc_u32_e32 v7, s2, v7
	v_ashrrev_i32_e32 v8, 31, v7
	s_waitcnt lgkmcnt(0)
	v_lshlrev_b64 v[28:29], 2, v[7:8]
	v_add_co_ci_u32_e64 v7, null, s21, v10, vcc_lo
	v_add_co_u32 v10, vcc_lo, s16, v28
	v_add_co_ci_u32_e64 v11, null, s17, v29, vcc_lo
	v_add_co_u32 v12, vcc_lo, s22, v28
	v_add_co_ci_u32_e64 v13, null, s23, v29, vcc_lo
	global_load_dwordx2 v[8:9], v[6:7], off
	global_load_dword v14, v[10:11], off
	global_load_dword v12, v[12:13], off
	v_add_co_u32 v10, vcc_lo, s8, v28
	v_add_co_ci_u32_e64 v11, null, s9, v29, vcc_lo
.LBB37_18:                              ;   Parent Loop BB37_17 Depth=1
                                        ; =>  This Inner Loop Header: Depth=2
	global_load_dword v13, v[10:11], off glc dlc
	s_waitcnt vmcnt(0)
	v_cmp_ne_u32_e32 vcc_lo, 0, v13
	s_or_b32 s1, vcc_lo, s1
	s_andn2_b32 exec_lo, exec_lo, s1
	s_cbranch_execnz .LBB37_18
; %bb.19:                               ;   in Loop: Header=BB37_17 Depth=1
	s_or_b32 exec_lo, exec_lo, s1
	v_cmp_eq_u32_e32 vcc_lo, -1, v12
	buffer_gl1_inv
	buffer_gl0_inv
	s_mov_b32 s7, -1
	v_cndmask_b32_e32 v12, v12, v20, vcc_lo
	v_ashrrev_i32_e32 v13, 31, v12
	v_lshlrev_b64 v[10:11], 3, v[12:13]
	v_add_co_u32 v10, vcc_lo, s20, v10
	v_add_co_ci_u32_e64 v11, null, s21, v11, vcc_lo
	global_load_dwordx2 v[10:11], v[10:11], off
	s_waitcnt vmcnt(0)
	v_cmp_neq_f32_e32 vcc_lo, 0, v10
	v_cmp_neq_f32_e64 s1, 0, v11
	s_or_b32 s10, vcc_lo, s1
	s_and_saveexec_b32 s1, s10
	s_cbranch_execz .LBB37_16
; %bb.20:                               ;   in Loop: Header=BB37_17 Depth=1
	v_add_nc_u32_e32 v13, v21, v14
	v_mov_b32_e32 v28, 0
	v_mov_b32_e32 v29, 0
	s_mov_b32 s7, exec_lo
	v_cmpx_lt_i32_e64 v13, v12
	s_cbranch_execz .LBB37_32
; %bb.21:                               ;   in Loop: Header=BB37_17 Depth=1
	v_mov_b32_e32 v28, 0
	v_mov_b32_e32 v29, 0
	s_mov_b32 s10, 0
	s_branch .LBB37_24
.LBB37_22:                              ;   in Loop: Header=BB37_24 Depth=2
	s_or_b32 exec_lo, exec_lo, s24
.LBB37_23:                              ;   in Loop: Header=BB37_24 Depth=2
	s_or_b32 exec_lo, exec_lo, s11
	v_add_nc_u32_e32 v13, 64, v13
	v_cmp_ge_i32_e32 vcc_lo, v13, v12
	s_or_b32 s10, vcc_lo, s10
	s_andn2_b32 exec_lo, exec_lo, s10
	s_cbranch_execz .LBB37_31
.LBB37_24:                              ;   Parent Loop BB37_17 Depth=1
                                        ; =>  This Loop Header: Depth=2
                                        ;       Child Loop BB37_27 Depth 3
	v_ashrrev_i32_e32 v14, 31, v13
	s_mov_b32 s11, exec_lo
	v_lshlrev_b64 v[30:31], 2, v[13:14]
	v_add_co_u32 v30, vcc_lo, s18, v30
	v_add_co_ci_u32_e64 v31, null, s19, v31, vcc_lo
	global_load_dword v30, v[30:31], off
	s_waitcnt vmcnt(0)
	v_mul_lo_u32 v31, 0x67, v30
	v_and_b32_e32 v33, 0x3ff, v31
	v_lshl_add_u32 v31, v33, 2, v16
	ds_read_b32 v32, v31
	s_waitcnt lgkmcnt(0)
	v_cmpx_ne_u32_e32 -1, v32
	s_cbranch_execz .LBB37_23
; %bb.25:                               ;   in Loop: Header=BB37_24 Depth=2
	s_mov_b32 s25, 0
                                        ; implicit-def: $sgpr24
                                        ; implicit-def: $sgpr27
                                        ; implicit-def: $sgpr26
	s_inst_prefetch 0x1
	s_branch .LBB37_27
	.p2align	6
.LBB37_26:                              ;   in Loop: Header=BB37_27 Depth=3
	s_or_b32 exec_lo, exec_lo, s28
	s_and_b32 s28, exec_lo, s27
	s_or_b32 s25, s28, s25
	s_andn2_b32 s24, s24, exec_lo
	s_and_b32 s28, s26, exec_lo
	s_or_b32 s24, s24, s28
	s_andn2_b32 exec_lo, exec_lo, s25
	s_cbranch_execz .LBB37_29
.LBB37_27:                              ;   Parent Loop BB37_17 Depth=1
                                        ;     Parent Loop BB37_24 Depth=2
                                        ; =>    This Inner Loop Header: Depth=3
	v_mov_b32_e32 v31, v33
	v_cmp_ne_u32_e32 vcc_lo, v32, v30
	s_or_b32 s26, s26, exec_lo
	s_or_b32 s27, s27, exec_lo
                                        ; implicit-def: $vgpr33
                                        ; implicit-def: $vgpr32
	s_and_saveexec_b32 s28, vcc_lo
	s_cbranch_execz .LBB37_26
; %bb.28:                               ;   in Loop: Header=BB37_27 Depth=3
	v_add_nc_u32_e32 v32, 1, v31
	s_andn2_b32 s27, s27, exec_lo
	s_andn2_b32 s26, s26, exec_lo
	v_and_b32_e32 v33, 0x3ff, v32
	v_lshl_add_u32 v32, v33, 2, v16
	ds_read_b32 v32, v32
	s_waitcnt lgkmcnt(0)
	v_cmp_eq_u32_e32 vcc_lo, -1, v32
	s_and_b32 s29, vcc_lo, exec_lo
	s_or_b32 s27, s27, s29
	s_branch .LBB37_26
.LBB37_29:                              ;   in Loop: Header=BB37_24 Depth=2
	s_inst_prefetch 0x2
	s_or_b32 exec_lo, exec_lo, s25
	s_and_saveexec_b32 s25, s24
	s_xor_b32 s24, exec_lo, s25
	s_cbranch_execz .LBB37_22
; %bb.30:                               ;   in Loop: Header=BB37_24 Depth=2
	v_lshl_add_u32 v30, v31, 2, v0
	v_lshlrev_b64 v[32:33], 3, v[13:14]
	ds_read_b32 v30, v30
	v_add_co_u32 v32, vcc_lo, s20, v32
	v_add_co_ci_u32_e64 v33, null, s21, v33, vcc_lo
	s_waitcnt lgkmcnt(0)
	v_ashrrev_i32_e32 v31, 31, v30
	v_lshlrev_b64 v[30:31], 3, v[30:31]
	v_add_co_u32 v30, vcc_lo, s20, v30
	v_add_co_ci_u32_e64 v31, null, s21, v31, vcc_lo
	s_clause 0x1
	global_load_dwordx2 v[32:33], v[32:33], off
	global_load_dwordx2 v[30:31], v[30:31], off
	s_waitcnt vmcnt(0)
	v_fmac_f32_e32 v29, v32, v30
	v_fmac_f32_e32 v28, v33, v30
	;; [unrolled: 1-line block ×3, first 2 shown]
	v_fma_f32 v28, v32, -v31, v28
	s_branch .LBB37_22
.LBB37_31:                              ;   in Loop: Header=BB37_17 Depth=1
	s_or_b32 exec_lo, exec_lo, s10
.LBB37_32:                              ;   in Loop: Header=BB37_17 Depth=1
	s_or_b32 exec_lo, exec_lo, s7
	v_cmp_gt_i32_e32 vcc_lo, 32, v22
	v_cndmask_b32_e32 v12, v19, v22, vcc_lo
	v_cmp_gt_i32_e32 vcc_lo, 32, v23
	v_lshlrev_b32_e32 v12, 2, v12
	v_cndmask_b32_e32 v14, v19, v23, vcc_lo
	v_cmp_gt_i32_e32 vcc_lo, 32, v24
	ds_bpermute_b32 v13, v12, v29
	ds_bpermute_b32 v12, v12, v28
	v_lshlrev_b32_e32 v14, 2, v14
	s_waitcnt lgkmcnt(1)
	v_add_f32_e32 v13, v29, v13
	s_waitcnt lgkmcnt(0)
	v_add_f32_e32 v12, v28, v12
	v_cndmask_b32_e32 v29, v19, v24, vcc_lo
	v_cmp_gt_i32_e32 vcc_lo, 32, v25
	ds_bpermute_b32 v28, v14, v13
	ds_bpermute_b32 v14, v14, v12
	v_lshlrev_b32_e32 v29, 2, v29
	s_waitcnt lgkmcnt(1)
	v_add_f32_e32 v13, v13, v28
	s_waitcnt lgkmcnt(0)
	v_add_f32_e32 v12, v12, v14
	ds_bpermute_b32 v14, v29, v13
	ds_bpermute_b32 v28, v29, v12
	v_cndmask_b32_e32 v29, v19, v25, vcc_lo
	v_cmp_gt_i32_e32 vcc_lo, 32, v26
	v_lshlrev_b32_e32 v29, 2, v29
	s_waitcnt lgkmcnt(1)
	v_add_f32_e32 v13, v13, v14
	s_waitcnt lgkmcnt(0)
	v_add_f32_e32 v12, v12, v28
	ds_bpermute_b32 v14, v29, v13
	ds_bpermute_b32 v28, v29, v12
	v_cndmask_b32_e32 v29, v19, v26, vcc_lo
	v_cmp_gt_i32_e32 vcc_lo, 32, v27
	v_lshlrev_b32_e32 v29, 2, v29
	s_waitcnt lgkmcnt(1)
	v_add_f32_e32 v13, v13, v14
	s_waitcnt lgkmcnt(0)
	v_add_f32_e32 v14, v12, v28
	ds_bpermute_b32 v12, v29, v13
	ds_bpermute_b32 v28, v29, v14
	v_cndmask_b32_e32 v29, v19, v27, vcc_lo
	v_lshlrev_b32_e32 v29, 2, v29
	s_waitcnt lgkmcnt(1)
	v_add_f32_e32 v12, v13, v12
	s_waitcnt lgkmcnt(0)
	v_add_f32_e32 v14, v14, v28
	ds_bpermute_b32 v13, v29, v12
	ds_bpermute_b32 v28, v29, v14
	s_and_saveexec_b32 s7, s0
	s_cbranch_execz .LBB37_15
; %bb.33:                               ;   in Loop: Header=BB37_17 Depth=1
	v_mul_f32_e32 v29, v11, v11
	s_waitcnt lgkmcnt(0)
	v_add_f32_e32 v14, v14, v28
	v_add_f32_e32 v12, v12, v13
	v_fmac_f32_e32 v29, v10, v10
	v_sub_f32_e32 v12, v8, v12
	v_div_scale_f32 v30, null, v29, v29, 1.0
	v_div_scale_f32 v33, vcc_lo, 1.0, v29, 1.0
	v_rcp_f32_e32 v31, v30
	v_fma_f32 v32, -v30, v31, 1.0
	v_fmac_f32_e32 v31, v32, v31
	v_mul_f32_e32 v32, v33, v31
	v_fma_f32 v34, -v30, v32, v33
	v_fmac_f32_e32 v32, v34, v31
	v_fma_f32 v30, -v30, v32, v33
	v_div_fmas_f32 v30, v30, v31, v32
	v_fma_f32 v31, v10, 0, -v11
	v_fma_f32 v10, 0, v11, v10
	v_sub_f32_e32 v11, v9, v14
	v_div_fixup_f32 v28, v30, v29, 1.0
	v_mul_f32_e32 v9, v31, v28
	v_mul_f32_e32 v10, v10, v28
	v_mul_f32_e64 v8, v9, -v11
	v_mul_f32_e32 v9, v9, v12
	v_fmac_f32_e32 v8, v12, v10
	v_fmac_f32_e32 v9, v11, v10
	;; [unrolled: 1-line block ×4, first 2 shown]
	global_store_dwordx2 v[6:7], v[8:9], off
	v_fmac_f32_e32 v18, v9, v9
	v_fma_f32 v17, v8, -v9, v17
	s_branch .LBB37_15
.LBB37_34:
	s_or_b32 exec_lo, exec_lo, s6
.LBB37_35:
	s_or_b32 exec_lo, exec_lo, s3
	v_cmp_eq_u32_e64 s0, 63, v15
	v_cmp_lt_i32_e32 vcc_lo, -1, v4
	s_and_b32 s1, s0, vcc_lo
	s_and_saveexec_b32 s3, s1
	s_cbranch_execz .LBB37_52
; %bb.36:
	v_mov_b32_e32 v5, 0
	s_load_dwordx2 s[4:5], s[4:5], 0x48
	v_add_nc_u32_e32 v0, s2, v3
	v_lshlrev_b64 v[4:5], 3, v[4:5]
	v_add_co_u32 v4, vcc_lo, s20, v4
	v_add_co_ci_u32_e64 v5, null, s21, v5, vcc_lo
	global_load_dwordx2 v[6:7], v[4:5], off
	s_waitcnt lgkmcnt(0)
	v_mul_f64 v[8:9], s[4:5], s[4:5]
	s_waitcnt vmcnt(0)
	v_sub_f32_e32 v6, v6, v18
	v_sub_f32_e32 v7, v7, v17
	v_cvt_f64_f32_e32 v[10:11], v6
	v_cmp_eq_f32_e64 s1, 0, v7
	v_cmp_ge_f64_e32 vcc_lo, v[8:9], v[10:11]
	s_and_b32 s2, vcc_lo, s1
	s_and_saveexec_b32 s1, s2
	s_cbranch_execz .LBB37_41
; %bb.37:
	s_mov_b32 s4, exec_lo
	s_brev_b32 s2, -2
.LBB37_38:                              ; =>This Inner Loop Header: Depth=1
	s_ff1_i32_b32 s5, s4
	v_readlane_b32 s6, v0, s5
	s_lshl_b32 s5, 1, s5
	s_andn2_b32 s4, s4, s5
	s_min_i32 s2, s2, s6
	s_cmp_lg_u32 s4, 0
	s_cbranch_scc1 .LBB37_38
; %bb.39:
	v_mbcnt_lo_u32_b32 v3, exec_lo, 0
	s_mov_b32 s4, exec_lo
	v_cmpx_eq_u32_e32 0, v3
	s_xor_b32 s4, exec_lo, s4
	s_cbranch_execz .LBB37_41
; %bb.40:
	v_mov_b32_e32 v3, 0
	v_mov_b32_e32 v8, s2
	global_atomic_smin v3, v8, s[14:15]
.LBB37_41:
	s_or_b32 exec_lo, exec_lo, s1
	v_cmp_gt_f32_e32 vcc_lo, 0, v6
                                        ; implicit-def: $vgpr8
	s_mov_b32 s1, exec_lo
	v_cndmask_b32_e64 v3, v6, -v6, vcc_lo
	v_cmp_gt_f32_e32 vcc_lo, 0, v7
	v_cndmask_b32_e64 v6, v7, -v7, vcc_lo
	v_cmpx_ngt_f32_e32 v3, v6
	s_xor_b32 s2, exec_lo, s1
	s_cbranch_execz .LBB37_45
; %bb.42:
	v_mov_b32_e32 v8, 0
	s_mov_b32 s4, exec_lo
	v_cmpx_neq_f32_e32 0, v7
	s_cbranch_execz .LBB37_44
; %bb.43:
	v_div_scale_f32 v7, null, v6, v6, v3
	v_div_scale_f32 v10, vcc_lo, v3, v6, v3
	v_rcp_f32_e32 v8, v7
	v_fma_f32 v9, -v7, v8, 1.0
	v_fmac_f32_e32 v8, v9, v8
	v_mul_f32_e32 v9, v10, v8
	v_fma_f32 v11, -v7, v9, v10
	v_fmac_f32_e32 v9, v11, v8
	v_fma_f32 v7, -v7, v9, v10
	v_div_fmas_f32 v7, v7, v8, v9
	v_div_fixup_f32 v3, v7, v6, v3
	v_fma_f32 v3, v3, v3, 1.0
	v_mul_f32_e32 v7, 0x4f800000, v3
	v_cmp_gt_f32_e32 vcc_lo, 0xf800000, v3
	v_cndmask_b32_e32 v3, v3, v7, vcc_lo
	v_sqrt_f32_e32 v7, v3
	v_add_nc_u32_e32 v8, -1, v7
	v_add_nc_u32_e32 v9, 1, v7
	v_fma_f32 v10, -v8, v7, v3
	v_fma_f32 v11, -v9, v7, v3
	v_cmp_ge_f32_e64 s1, 0, v10
	v_cndmask_b32_e64 v7, v7, v8, s1
	v_cmp_lt_f32_e64 s1, 0, v11
	v_cndmask_b32_e64 v7, v7, v9, s1
	v_mul_f32_e32 v8, 0x37800000, v7
	v_cndmask_b32_e32 v7, v7, v8, vcc_lo
	v_cmp_class_f32_e64 vcc_lo, v3, 0x260
	v_cndmask_b32_e32 v3, v7, v3, vcc_lo
	v_mul_f32_e32 v8, v6, v3
.LBB37_44:
	s_or_b32 exec_lo, exec_lo, s4
                                        ; implicit-def: $vgpr3
                                        ; implicit-def: $vgpr6
.LBB37_45:
	s_andn2_saveexec_b32 s2, s2
	s_cbranch_execz .LBB37_47
; %bb.46:
	v_div_scale_f32 v7, null, v3, v3, v6
	v_div_scale_f32 v10, vcc_lo, v6, v3, v6
	v_rcp_f32_e32 v8, v7
	v_fma_f32 v9, -v7, v8, 1.0
	v_fmac_f32_e32 v8, v9, v8
	v_mul_f32_e32 v9, v10, v8
	v_fma_f32 v11, -v7, v9, v10
	v_fmac_f32_e32 v9, v11, v8
	v_fma_f32 v7, -v7, v9, v10
	v_div_fmas_f32 v7, v7, v8, v9
	v_div_fixup_f32 v6, v7, v3, v6
	v_fma_f32 v6, v6, v6, 1.0
	v_mul_f32_e32 v7, 0x4f800000, v6
	v_cmp_gt_f32_e32 vcc_lo, 0xf800000, v6
	v_cndmask_b32_e32 v6, v6, v7, vcc_lo
	v_sqrt_f32_e32 v7, v6
	v_add_nc_u32_e32 v8, -1, v7
	v_add_nc_u32_e32 v9, 1, v7
	v_fma_f32 v10, -v8, v7, v6
	v_fma_f32 v11, -v9, v7, v6
	v_cmp_ge_f32_e64 s1, 0, v10
	v_cndmask_b32_e64 v7, v7, v8, s1
	v_cmp_lt_f32_e64 s1, 0, v11
	v_cndmask_b32_e64 v7, v7, v9, s1
	v_mul_f32_e32 v8, 0x37800000, v7
	v_cndmask_b32_e32 v7, v7, v8, vcc_lo
	v_cmp_class_f32_e64 vcc_lo, v6, 0x260
	v_cndmask_b32_e32 v6, v7, v6, vcc_lo
	v_mul_f32_e32 v8, v3, v6
.LBB37_47:
	s_or_b32 exec_lo, exec_lo, s2
	v_mul_f32_e32 v3, 0x4f800000, v8
	v_cmp_gt_f32_e32 vcc_lo, 0xf800000, v8
	v_cndmask_b32_e32 v3, v8, v3, vcc_lo
	v_sqrt_f32_e32 v6, v3
	v_add_nc_u32_e32 v7, -1, v6
	v_add_nc_u32_e32 v9, 1, v6
	v_fma_f32 v10, -v7, v6, v3
	v_fma_f32 v11, -v9, v6, v3
	v_cmp_ge_f32_e64 s1, 0, v10
	v_cndmask_b32_e64 v6, v6, v7, s1
	v_cmp_lt_f32_e64 s1, 0, v11
	v_cndmask_b32_e64 v6, v6, v9, s1
	v_mul_f32_e32 v7, 0x37800000, v6
	v_cndmask_b32_e32 v6, v6, v7, vcc_lo
	v_cmp_class_f32_e64 vcc_lo, v3, 0x260
	v_mov_b32_e32 v7, 0
	v_cndmask_b32_e32 v6, v6, v3, vcc_lo
	v_cmp_eq_f32_e32 vcc_lo, 0, v8
	global_store_dwordx2 v[4:5], v[6:7], off
	s_and_b32 exec_lo, exec_lo, vcc_lo
	s_cbranch_execz .LBB37_52
; %bb.48:
	s_mov_b32 s2, exec_lo
	s_brev_b32 s1, -2
.LBB37_49:                              ; =>This Inner Loop Header: Depth=1
	s_ff1_i32_b32 s4, s2
	v_readlane_b32 s5, v0, s4
	s_lshl_b32 s4, 1, s4
	s_andn2_b32 s2, s2, s4
	s_min_i32 s1, s1, s5
	s_cmp_lg_u32 s2, 0
	s_cbranch_scc1 .LBB37_49
; %bb.50:
	v_mbcnt_lo_u32_b32 v0, exec_lo, 0
	s_mov_b32 s2, exec_lo
	v_cmpx_eq_u32_e32 0, v0
	s_xor_b32 s2, exec_lo, s2
	s_cbranch_execz .LBB37_52
; %bb.51:
	v_mov_b32_e32 v0, 0
	v_mov_b32_e32 v3, s1
	global_atomic_smin v0, v3, s[12:13]
.LBB37_52:
	s_or_b32 exec_lo, exec_lo, s3
	s_and_b32 exec_lo, exec_lo, s0
	s_cbranch_execz .LBB37_54
; %bb.53:
	v_add_co_u32 v0, vcc_lo, s8, v1
	v_add_co_ci_u32_e64 v1, null, s9, v2, vcc_lo
	v_mov_b32_e32 v2, 1
	s_waitcnt lgkmcnt(0)
	s_waitcnt_vscnt null, 0x0
	global_store_dword v[0:1], v2, off
.LBB37_54:
	s_endpgm
	.section	.rodata,"a",@progbits
	.p2align	6, 0x0
	.amdhsa_kernel _ZN9rocsparseL18csric0_hash_kernelILj256ELj64ELj16E21rocsparse_complex_numIfEEEviPKiS4_PT2_S4_PiS4_S7_S7_d21rocsparse_index_base_
		.amdhsa_group_segment_fixed_size 32768
		.amdhsa_private_segment_fixed_size 0
		.amdhsa_kernarg_size 84
		.amdhsa_user_sgpr_count 6
		.amdhsa_user_sgpr_private_segment_buffer 1
		.amdhsa_user_sgpr_dispatch_ptr 0
		.amdhsa_user_sgpr_queue_ptr 0
		.amdhsa_user_sgpr_kernarg_segment_ptr 1
		.amdhsa_user_sgpr_dispatch_id 0
		.amdhsa_user_sgpr_flat_scratch_init 0
		.amdhsa_user_sgpr_private_segment_size 0
		.amdhsa_wavefront_size32 1
		.amdhsa_uses_dynamic_stack 0
		.amdhsa_system_sgpr_private_segment_wavefront_offset 0
		.amdhsa_system_sgpr_workgroup_id_x 1
		.amdhsa_system_sgpr_workgroup_id_y 0
		.amdhsa_system_sgpr_workgroup_id_z 0
		.amdhsa_system_sgpr_workgroup_info 0
		.amdhsa_system_vgpr_workitem_id 0
		.amdhsa_next_free_vgpr 113
		.amdhsa_next_free_sgpr 30
		.amdhsa_reserve_vcc 1
		.amdhsa_reserve_flat_scratch 0
		.amdhsa_float_round_mode_32 0
		.amdhsa_float_round_mode_16_64 0
		.amdhsa_float_denorm_mode_32 3
		.amdhsa_float_denorm_mode_16_64 3
		.amdhsa_dx10_clamp 1
		.amdhsa_ieee_mode 1
		.amdhsa_fp16_overflow 0
		.amdhsa_workgroup_processor_mode 1
		.amdhsa_memory_ordered 1
		.amdhsa_forward_progress 1
		.amdhsa_shared_vgpr_count 0
		.amdhsa_exception_fp_ieee_invalid_op 0
		.amdhsa_exception_fp_denorm_src 0
		.amdhsa_exception_fp_ieee_div_zero 0
		.amdhsa_exception_fp_ieee_overflow 0
		.amdhsa_exception_fp_ieee_underflow 0
		.amdhsa_exception_fp_ieee_inexact 0
		.amdhsa_exception_int_div_zero 0
	.end_amdhsa_kernel
	.section	.text._ZN9rocsparseL18csric0_hash_kernelILj256ELj64ELj16E21rocsparse_complex_numIfEEEviPKiS4_PT2_S4_PiS4_S7_S7_d21rocsparse_index_base_,"axG",@progbits,_ZN9rocsparseL18csric0_hash_kernelILj256ELj64ELj16E21rocsparse_complex_numIfEEEviPKiS4_PT2_S4_PiS4_S7_S7_d21rocsparse_index_base_,comdat
.Lfunc_end37:
	.size	_ZN9rocsparseL18csric0_hash_kernelILj256ELj64ELj16E21rocsparse_complex_numIfEEEviPKiS4_PT2_S4_PiS4_S7_S7_d21rocsparse_index_base_, .Lfunc_end37-_ZN9rocsparseL18csric0_hash_kernelILj256ELj64ELj16E21rocsparse_complex_numIfEEEviPKiS4_PT2_S4_PiS4_S7_S7_d21rocsparse_index_base_
                                        ; -- End function
	.set _ZN9rocsparseL18csric0_hash_kernelILj256ELj64ELj16E21rocsparse_complex_numIfEEEviPKiS4_PT2_S4_PiS4_S7_S7_d21rocsparse_index_base_.num_vgpr, 35
	.set _ZN9rocsparseL18csric0_hash_kernelILj256ELj64ELj16E21rocsparse_complex_numIfEEEviPKiS4_PT2_S4_PiS4_S7_S7_d21rocsparse_index_base_.num_agpr, 0
	.set _ZN9rocsparseL18csric0_hash_kernelILj256ELj64ELj16E21rocsparse_complex_numIfEEEviPKiS4_PT2_S4_PiS4_S7_S7_d21rocsparse_index_base_.numbered_sgpr, 30
	.set _ZN9rocsparseL18csric0_hash_kernelILj256ELj64ELj16E21rocsparse_complex_numIfEEEviPKiS4_PT2_S4_PiS4_S7_S7_d21rocsparse_index_base_.num_named_barrier, 0
	.set _ZN9rocsparseL18csric0_hash_kernelILj256ELj64ELj16E21rocsparse_complex_numIfEEEviPKiS4_PT2_S4_PiS4_S7_S7_d21rocsparse_index_base_.private_seg_size, 0
	.set _ZN9rocsparseL18csric0_hash_kernelILj256ELj64ELj16E21rocsparse_complex_numIfEEEviPKiS4_PT2_S4_PiS4_S7_S7_d21rocsparse_index_base_.uses_vcc, 1
	.set _ZN9rocsparseL18csric0_hash_kernelILj256ELj64ELj16E21rocsparse_complex_numIfEEEviPKiS4_PT2_S4_PiS4_S7_S7_d21rocsparse_index_base_.uses_flat_scratch, 0
	.set _ZN9rocsparseL18csric0_hash_kernelILj256ELj64ELj16E21rocsparse_complex_numIfEEEviPKiS4_PT2_S4_PiS4_S7_S7_d21rocsparse_index_base_.has_dyn_sized_stack, 0
	.set _ZN9rocsparseL18csric0_hash_kernelILj256ELj64ELj16E21rocsparse_complex_numIfEEEviPKiS4_PT2_S4_PiS4_S7_S7_d21rocsparse_index_base_.has_recursion, 0
	.set _ZN9rocsparseL18csric0_hash_kernelILj256ELj64ELj16E21rocsparse_complex_numIfEEEviPKiS4_PT2_S4_PiS4_S7_S7_d21rocsparse_index_base_.has_indirect_call, 0
	.section	.AMDGPU.csdata,"",@progbits
; Kernel info:
; codeLenInByte = 2844
; TotalNumSgprs: 32
; NumVgprs: 35
; ScratchSize: 0
; MemoryBound: 0
; FloatMode: 240
; IeeeMode: 1
; LDSByteSize: 32768 bytes/workgroup (compile time only)
; SGPRBlocks: 0
; VGPRBlocks: 14
; NumSGPRsForWavesPerEU: 32
; NumVGPRsForWavesPerEU: 113
; Occupancy: 8
; WaveLimiterHint : 1
; COMPUTE_PGM_RSRC2:SCRATCH_EN: 0
; COMPUTE_PGM_RSRC2:USER_SGPR: 6
; COMPUTE_PGM_RSRC2:TRAP_HANDLER: 0
; COMPUTE_PGM_RSRC2:TGID_X_EN: 1
; COMPUTE_PGM_RSRC2:TGID_Y_EN: 0
; COMPUTE_PGM_RSRC2:TGID_Z_EN: 0
; COMPUTE_PGM_RSRC2:TIDIG_COMP_CNT: 0
	.section	.text._ZN9rocsparseL23csric0_binsearch_kernelILj256ELj64ELb0E21rocsparse_complex_numIfEEEviPKiS4_PT2_S4_PiS4_S7_S7_d21rocsparse_index_base_,"axG",@progbits,_ZN9rocsparseL23csric0_binsearch_kernelILj256ELj64ELb0E21rocsparse_complex_numIfEEEviPKiS4_PT2_S4_PiS4_S7_S7_d21rocsparse_index_base_,comdat
	.globl	_ZN9rocsparseL23csric0_binsearch_kernelILj256ELj64ELb0E21rocsparse_complex_numIfEEEviPKiS4_PT2_S4_PiS4_S7_S7_d21rocsparse_index_base_ ; -- Begin function _ZN9rocsparseL23csric0_binsearch_kernelILj256ELj64ELb0E21rocsparse_complex_numIfEEEviPKiS4_PT2_S4_PiS4_S7_S7_d21rocsparse_index_base_
	.p2align	8
	.type	_ZN9rocsparseL23csric0_binsearch_kernelILj256ELj64ELb0E21rocsparse_complex_numIfEEEviPKiS4_PT2_S4_PiS4_S7_S7_d21rocsparse_index_base_,@function
_ZN9rocsparseL23csric0_binsearch_kernelILj256ELj64ELb0E21rocsparse_complex_numIfEEEviPKiS4_PT2_S4_PiS4_S7_S7_d21rocsparse_index_base_: ; @_ZN9rocsparseL23csric0_binsearch_kernelILj256ELj64ELb0E21rocsparse_complex_numIfEEEviPKiS4_PT2_S4_PiS4_S7_S7_d21rocsparse_index_base_
; %bb.0:
	s_load_dword s0, s[4:5], 0x0
	v_lshrrev_b32_e32 v1, 6, v0
	s_lshl_b32 s1, s6, 2
	v_and_or_b32 v1, 0x3fffffc, s1, v1
	s_waitcnt lgkmcnt(0)
	v_cmp_gt_i32_e32 vcc_lo, s0, v1
	s_and_saveexec_b32 s0, vcc_lo
	s_cbranch_execz .LBB38_54
; %bb.1:
	s_load_dwordx8 s[8:15], s[4:5], 0x18
	v_lshlrev_b32_e32 v1, 2, v1
	v_and_b32_e32 v17, 63, v0
	v_mov_b32_e32 v0, 0
	v_mov_b32_e32 v18, 0
	s_mov_b32 s21, exec_lo
	s_waitcnt lgkmcnt(0)
	global_load_dword v3, v1, s[14:15]
	s_load_dwordx2 s[14:15], s[4:5], 0x8
	s_waitcnt vmcnt(0)
	v_ashrrev_i32_e32 v4, 31, v3
	v_lshlrev_b64 v[1:2], 2, v[3:4]
	s_waitcnt lgkmcnt(0)
	v_add_co_u32 v5, vcc_lo, s14, v1
	v_add_co_ci_u32_e64 v6, null, s15, v2, vcc_lo
	v_add_co_u32 v7, vcc_lo, s10, v1
	v_add_co_ci_u32_e64 v8, null, s11, v2, vcc_lo
	global_load_dword v9, v[5:6], off
	global_load_dword v4, v[7:8], off
	s_clause 0x2
	s_load_dword s20, s[4:5], 0x50
	s_load_dwordx4 s[16:19], s[4:5], 0x38
	s_load_dwordx2 s[6:7], s[4:5], 0x48
	s_waitcnt vmcnt(1) lgkmcnt(0)
	v_subrev_nc_u32_e32 v19, s20, v9
	s_waitcnt vmcnt(0)
	v_cmpx_lt_i32_e64 v19, v4
	s_cbranch_execz .LBB38_35
; %bb.2:
	global_load_dword v6, v[5:6], off offset:4
	s_load_dwordx2 s[4:5], s[4:5], 0x10
	v_add_nc_u32_e32 v20, -1, v4
	v_cmp_eq_u32_e64 s0, 0, v17
	v_subrev_nc_u32_e32 v21, s20, v17
	v_cmp_eq_u32_e64 s1, 63, v17
	v_mov_b32_e32 v22, 0
	v_mbcnt_lo_u32_b32 v23, -1, 0
	v_mov_b32_e32 v5, v19
	v_mov_b32_e32 v0, 0
	;; [unrolled: 1-line block ×3, first 2 shown]
	s_mov_b32 s22, 0
	s_waitcnt vmcnt(0)
	v_xad_u32 v24, s20, -1, v6
	s_branch .LBB38_5
.LBB38_3:                               ;   in Loop: Header=BB38_5 Depth=1
	s_or_b32 exec_lo, exec_lo, s23
.LBB38_4:                               ;   in Loop: Header=BB38_5 Depth=1
	s_or_b32 exec_lo, exec_lo, s2
	v_add_nc_u32_e32 v5, 1, v5
	v_cmp_ge_i32_e32 vcc_lo, v5, v4
	s_or_b32 s2, s3, vcc_lo
	s_and_b32 s2, exec_lo, s2
	s_or_b32 s22, s2, s22
	s_andn2_b32 exec_lo, exec_lo, s22
	s_cbranch_execz .LBB38_34
.LBB38_5:                               ; =>This Loop Header: Depth=1
                                        ;     Child Loop BB38_7 Depth 2
                                        ;     Child Loop BB38_11 Depth 2
	;; [unrolled: 1-line block ×4, first 2 shown]
                                        ;       Child Loop BB38_27 Depth 3
	v_ashrrev_i32_e32 v6, 31, v5
	s_mov_b32 s2, exec_lo
	v_lshlrev_b64 v[7:8], 2, v[5:6]
	v_lshlrev_b64 v[9:10], 3, v[5:6]
	s_waitcnt lgkmcnt(0)
	v_add_co_u32 v7, vcc_lo, s4, v7
	v_add_co_ci_u32_e64 v8, null, s5, v8, vcc_lo
	v_add_co_u32 v6, vcc_lo, s8, v9
	global_load_dword v14, v[7:8], off
	s_waitcnt vmcnt(0)
	v_subrev_nc_u32_e32 v7, s20, v14
	v_ashrrev_i32_e32 v8, 31, v7
	v_lshlrev_b64 v[11:12], 2, v[7:8]
	v_add_co_ci_u32_e64 v7, null, s9, v10, vcc_lo
	v_add_co_u32 v15, vcc_lo, s14, v11
	v_add_co_ci_u32_e64 v16, null, s15, v12, vcc_lo
	v_add_co_u32 v25, vcc_lo, s10, v11
	;; [unrolled: 2-line block ×3, first 2 shown]
	v_add_co_ci_u32_e64 v11, null, s13, v12, vcc_lo
	global_load_dwordx2 v[8:9], v[6:7], off
	global_load_dword v15, v[15:16], off
	global_load_dword v12, v[25:26], off
	global_load_dword v13, v[10:11], off glc dlc
	s_waitcnt vmcnt(0)
	v_cmpx_eq_u32_e32 0, v13
	s_cbranch_execz .LBB38_8
; %bb.6:                                ;   in Loop: Header=BB38_5 Depth=1
	s_mov_b32 s3, 0
.LBB38_7:                               ;   Parent Loop BB38_5 Depth=1
                                        ; =>  This Inner Loop Header: Depth=2
	global_load_dword v13, v[10:11], off glc dlc
	s_waitcnt vmcnt(0)
	v_cmp_ne_u32_e32 vcc_lo, 0, v13
	s_or_b32 s3, vcc_lo, s3
	s_andn2_b32 exec_lo, exec_lo, s3
	s_cbranch_execnz .LBB38_7
.LBB38_8:                               ;   in Loop: Header=BB38_5 Depth=1
	s_or_b32 exec_lo, exec_lo, s2
	v_cmp_eq_u32_e32 vcc_lo, -1, v12
	buffer_gl1_inv
	buffer_gl0_inv
	v_cndmask_b32_e32 v12, v12, v20, vcc_lo
	v_ashrrev_i32_e32 v13, 31, v12
	v_lshlrev_b64 v[10:11], 3, v[12:13]
	v_add_co_u32 v10, vcc_lo, s8, v10
	v_add_co_ci_u32_e64 v11, null, s9, v11, vcc_lo
	global_load_dwordx2 v[10:11], v[10:11], off
	s_waitcnt vmcnt(0)
	v_cmp_neq_f32_e64 s2, 0, v10
	v_cmp_neq_f32_e64 s3, 0, v11
	v_cmp_eq_f32_e32 vcc_lo, 0, v11
	s_or_b32 s2, s2, s3
	s_xor_b32 s3, s2, -1
	s_and_saveexec_b32 s2, s3
	s_xor_b32 s23, exec_lo, s2
	s_cbranch_execz .LBB38_15
; %bb.9:                                ;   in Loop: Header=BB38_5 Depth=1
	s_and_saveexec_b32 s24, s0
	s_cbranch_execz .LBB38_14
; %bb.10:                               ;   in Loop: Header=BB38_5 Depth=1
	s_mov_b32 s2, exec_lo
	s_brev_b32 s25, -2
.LBB38_11:                              ;   Parent Loop BB38_5 Depth=1
                                        ; =>  This Inner Loop Header: Depth=2
	s_ff1_i32_b32 s26, s2
	v_readlane_b32 s27, v14, s26
	s_lshl_b32 s26, 1, s26
	s_andn2_b32 s2, s2, s26
	s_min_i32 s25, s25, s27
	s_cmp_lg_u32 s2, 0
	s_cbranch_scc1 .LBB38_11
; %bb.12:                               ;   in Loop: Header=BB38_5 Depth=1
	v_mbcnt_lo_u32_b32 v6, exec_lo, 0
	s_mov_b32 s26, exec_lo
	v_cmpx_eq_u32_e32 0, v6
	s_xor_b32 s26, exec_lo, s26
	s_cbranch_execz .LBB38_14
; %bb.13:                               ;   in Loop: Header=BB38_5 Depth=1
	v_mov_b32_e32 v6, s25
	global_atomic_smin v22, v6, s[16:17]
.LBB38_14:                              ;   in Loop: Header=BB38_5 Depth=1
	s_or_b32 exec_lo, exec_lo, s24
                                        ; implicit-def: $vgpr10_vgpr11
                                        ; implicit-def: $vgpr8_vgpr9
                                        ; implicit-def: $vgpr6_vgpr7
                                        ; implicit-def: $vgpr15
                                        ; implicit-def: $vgpr12
                                        ; implicit-def: $vgpr14
.LBB38_15:                              ;   in Loop: Header=BB38_5 Depth=1
	s_andn2_saveexec_b32 s2, s23
	s_cbranch_execz .LBB38_4
; %bb.16:                               ;   in Loop: Header=BB38_5 Depth=1
	s_and_saveexec_b32 s23, vcc_lo
	s_cbranch_execz .LBB38_22
; %bb.17:                               ;   in Loop: Header=BB38_5 Depth=1
	v_cvt_f64_f32_e32 v[25:26], v10
	v_cmp_ge_f64_e32 vcc_lo, s[6:7], v[25:26]
	s_and_b32 s24, s0, vcc_lo
	s_and_b32 exec_lo, exec_lo, s24
	s_cbranch_execz .LBB38_22
; %bb.18:                               ;   in Loop: Header=BB38_5 Depth=1
	s_mov_b32 s25, exec_lo
	s_brev_b32 s24, -2
.LBB38_19:                              ;   Parent Loop BB38_5 Depth=1
                                        ; =>  This Inner Loop Header: Depth=2
	s_ff1_i32_b32 s26, s25
	v_readlane_b32 s27, v14, s26
	s_lshl_b32 s26, 1, s26
	s_andn2_b32 s25, s25, s26
	s_min_i32 s24, s24, s27
	s_cmp_lg_u32 s25, 0
	s_cbranch_scc1 .LBB38_19
; %bb.20:                               ;   in Loop: Header=BB38_5 Depth=1
	v_mbcnt_lo_u32_b32 v13, exec_lo, 0
	s_mov_b32 s25, exec_lo
	v_cmpx_eq_u32_e32 0, v13
	s_xor_b32 s25, exec_lo, s25
	s_cbranch_execz .LBB38_22
; %bb.21:                               ;   in Loop: Header=BB38_5 Depth=1
	v_mov_b32_e32 v13, s24
	global_atomic_smin v22, v13, s[18:19]
.LBB38_22:                              ;   in Loop: Header=BB38_5 Depth=1
	s_or_b32 exec_lo, exec_lo, s23
	v_add_nc_u32_e32 v13, v21, v15
	v_mov_b32_e32 v25, 0
	v_mov_b32_e32 v26, 0
	s_mov_b32 s23, exec_lo
	v_cmpx_lt_i32_e64 v13, v12
	s_cbranch_execz .LBB38_32
; %bb.23:                               ;   in Loop: Header=BB38_5 Depth=1
	v_mov_b32_e32 v25, 0
	v_mov_b32_e32 v27, v19
	;; [unrolled: 1-line block ×3, first 2 shown]
	s_mov_b32 s24, 0
	s_branch .LBB38_25
.LBB38_24:                              ;   in Loop: Header=BB38_25 Depth=2
	s_or_b32 exec_lo, exec_lo, s25
	v_add_nc_u32_e32 v13, 64, v13
	v_cmp_ge_i32_e32 vcc_lo, v13, v12
	s_or_b32 s24, vcc_lo, s24
	s_andn2_b32 exec_lo, exec_lo, s24
	s_cbranch_execz .LBB38_31
.LBB38_25:                              ;   Parent Loop BB38_5 Depth=1
                                        ; =>  This Loop Header: Depth=2
                                        ;       Child Loop BB38_27 Depth 3
	v_add_nc_u32_e32 v14, v27, v24
	s_mov_b32 s25, exec_lo
	v_ashrrev_i32_e32 v15, 1, v14
	v_ashrrev_i32_e32 v14, 31, v13
	;; [unrolled: 1-line block ×3, first 2 shown]
	v_lshlrev_b64 v[28:29], 2, v[13:14]
	v_lshlrev_b64 v[30:31], 2, v[15:16]
	v_add_co_u32 v28, vcc_lo, s4, v28
	v_add_co_ci_u32_e64 v29, null, s5, v29, vcc_lo
	v_add_co_u32 v30, vcc_lo, s4, v30
	v_add_co_ci_u32_e64 v31, null, s5, v31, vcc_lo
	s_clause 0x1
	global_load_dword v28, v[28:29], off
	global_load_dword v29, v[30:31], off
	v_cmpx_lt_i32_e64 v27, v24
	s_cbranch_execz .LBB38_29
; %bb.26:                               ;   in Loop: Header=BB38_25 Depth=2
	v_mov_b32_e32 v30, v24
	s_mov_b32 s26, 0
	.p2align	6
.LBB38_27:                              ;   Parent Loop BB38_5 Depth=1
                                        ;     Parent Loop BB38_25 Depth=2
                                        ; =>    This Inner Loop Header: Depth=3
	v_add_nc_u32_e32 v16, 1, v15
	s_waitcnt vmcnt(0)
	v_cmp_lt_i32_e32 vcc_lo, v29, v28
	v_cndmask_b32_e32 v30, v15, v30, vcc_lo
	v_cndmask_b32_e32 v27, v27, v16, vcc_lo
	v_add_nc_u32_e32 v15, v30, v27
	v_ashrrev_i32_e32 v15, 1, v15
	v_ashrrev_i32_e32 v16, 31, v15
	v_lshlrev_b64 v[31:32], 2, v[15:16]
	v_add_co_u32 v31, vcc_lo, s4, v31
	v_add_co_ci_u32_e64 v32, null, s5, v32, vcc_lo
	v_cmp_ge_i32_e32 vcc_lo, v27, v30
	global_load_dword v29, v[31:32], off
	s_or_b32 s26, vcc_lo, s26
	s_andn2_b32 exec_lo, exec_lo, s26
	s_cbranch_execnz .LBB38_27
; %bb.28:                               ;   in Loop: Header=BB38_25 Depth=2
	s_or_b32 exec_lo, exec_lo, s26
.LBB38_29:                              ;   in Loop: Header=BB38_25 Depth=2
	s_or_b32 exec_lo, exec_lo, s25
	s_mov_b32 s25, exec_lo
	s_waitcnt vmcnt(0)
	v_cmpx_eq_u32_e64 v29, v28
	s_cbranch_execz .LBB38_24
; %bb.30:                               ;   in Loop: Header=BB38_25 Depth=2
	v_lshlrev_b64 v[28:29], 3, v[13:14]
	v_lshlrev_b64 v[14:15], 3, v[15:16]
	v_add_co_u32 v28, vcc_lo, s8, v28
	v_add_co_ci_u32_e64 v29, null, s9, v29, vcc_lo
	v_add_co_u32 v14, vcc_lo, s8, v14
	v_add_co_ci_u32_e64 v15, null, s9, v15, vcc_lo
	s_clause 0x1
	global_load_dwordx2 v[28:29], v[28:29], off
	global_load_dwordx2 v[14:15], v[14:15], off
	s_waitcnt vmcnt(0)
	v_fmac_f32_e32 v26, v28, v14
	v_fmac_f32_e32 v25, v29, v14
	;; [unrolled: 1-line block ×3, first 2 shown]
	v_fma_f32 v25, v28, -v15, v25
	s_branch .LBB38_24
.LBB38_31:                              ;   in Loop: Header=BB38_5 Depth=1
	s_or_b32 exec_lo, exec_lo, s24
.LBB38_32:                              ;   in Loop: Header=BB38_5 Depth=1
	s_or_b32 exec_lo, exec_lo, s23
	v_or_b32_e32 v12, 32, v23
	v_xor_b32_e32 v14, 16, v23
	v_xor_b32_e32 v16, 8, v23
	v_cmp_gt_i32_e32 vcc_lo, 32, v12
	v_cndmask_b32_e32 v12, v23, v12, vcc_lo
	v_cmp_gt_i32_e32 vcc_lo, 32, v14
	v_lshlrev_b32_e32 v12, 2, v12
	v_cndmask_b32_e32 v14, v23, v14, vcc_lo
	v_cmp_gt_i32_e32 vcc_lo, 32, v16
	ds_bpermute_b32 v13, v12, v26
	ds_bpermute_b32 v12, v12, v25
	v_lshlrev_b32_e32 v14, 2, v14
	v_cndmask_b32_e32 v16, v23, v16, vcc_lo
	v_lshlrev_b32_e32 v16, 2, v16
	s_waitcnt lgkmcnt(1)
	v_add_f32_e32 v13, v26, v13
	s_waitcnt lgkmcnt(0)
	v_add_f32_e32 v12, v25, v12
	ds_bpermute_b32 v15, v14, v13
	ds_bpermute_b32 v14, v14, v12
	s_waitcnt lgkmcnt(1)
	v_add_f32_e32 v13, v13, v15
	s_waitcnt lgkmcnt(0)
	v_add_f32_e32 v12, v12, v14
	ds_bpermute_b32 v14, v16, v13
	ds_bpermute_b32 v15, v16, v12
	v_xor_b32_e32 v16, 4, v23
	v_cmp_gt_i32_e32 vcc_lo, 32, v16
	v_cndmask_b32_e32 v16, v23, v16, vcc_lo
	v_lshlrev_b32_e32 v16, 2, v16
	s_waitcnt lgkmcnt(1)
	v_add_f32_e32 v13, v13, v14
	s_waitcnt lgkmcnt(0)
	v_add_f32_e32 v12, v12, v15
	ds_bpermute_b32 v14, v16, v13
	ds_bpermute_b32 v15, v16, v12
	v_xor_b32_e32 v16, 2, v23
	v_cmp_gt_i32_e32 vcc_lo, 32, v16
	v_cndmask_b32_e32 v16, v23, v16, vcc_lo
	v_lshlrev_b32_e32 v16, 2, v16
	;; [unrolled: 10-line block ×3, first 2 shown]
	s_waitcnt lgkmcnt(1)
	v_add_f32_e32 v12, v13, v12
	s_waitcnt lgkmcnt(0)
	v_add_f32_e32 v14, v14, v15
	ds_bpermute_b32 v13, v16, v12
	ds_bpermute_b32 v15, v16, v14
	s_and_saveexec_b32 s23, s1
	s_cbranch_execz .LBB38_3
; %bb.33:                               ;   in Loop: Header=BB38_5 Depth=1
	v_mul_f32_e32 v16, v11, v11
	s_waitcnt lgkmcnt(0)
	v_add_f32_e32 v14, v14, v15
	v_add_f32_e32 v12, v12, v13
	v_fmac_f32_e32 v16, v10, v10
	v_sub_f32_e32 v12, v8, v12
	v_div_scale_f32 v25, null, v16, v16, 1.0
	v_div_scale_f32 v28, vcc_lo, 1.0, v16, 1.0
	v_rcp_f32_e32 v26, v25
	v_fma_f32 v27, -v25, v26, 1.0
	v_fmac_f32_e32 v26, v27, v26
	v_mul_f32_e32 v27, v28, v26
	v_fma_f32 v29, -v25, v27, v28
	v_fmac_f32_e32 v27, v29, v26
	v_fma_f32 v25, -v25, v27, v28
	v_div_fmas_f32 v25, v25, v26, v27
	v_fma_f32 v26, v10, 0, -v11
	v_fma_f32 v10, 0, v11, v10
	v_sub_f32_e32 v11, v9, v14
	v_div_fixup_f32 v15, v25, v16, 1.0
	v_mul_f32_e32 v9, v26, v15
	v_mul_f32_e32 v10, v10, v15
	v_mul_f32_e64 v8, v9, -v11
	v_mul_f32_e32 v9, v9, v12
	v_fmac_f32_e32 v8, v12, v10
	v_fmac_f32_e32 v9, v11, v10
	;; [unrolled: 1-line block ×4, first 2 shown]
	global_store_dwordx2 v[6:7], v[8:9], off
	v_fmac_f32_e32 v18, v9, v9
	v_fma_f32 v0, v8, -v9, v0
	s_branch .LBB38_3
.LBB38_34:
	s_or_b32 exec_lo, exec_lo, s22
.LBB38_35:
	s_or_b32 exec_lo, exec_lo, s21
	v_cmp_eq_u32_e64 s0, 63, v17
	v_cmp_lt_i32_e32 vcc_lo, -1, v4
	s_and_b32 s1, s0, vcc_lo
	s_and_saveexec_b32 s3, s1
	s_cbranch_execz .LBB38_52
; %bb.36:
	v_mov_b32_e32 v5, 0
	v_mul_f64 v[8:9], s[6:7], s[6:7]
	v_lshlrev_b64 v[4:5], 3, v[4:5]
	v_add_co_u32 v4, vcc_lo, s8, v4
	v_add_co_ci_u32_e64 v5, null, s9, v5, vcc_lo
	global_load_dwordx2 v[6:7], v[4:5], off
	s_waitcnt vmcnt(0)
	v_sub_f32_e32 v6, v6, v18
	v_sub_f32_e32 v7, v7, v0
	v_add_nc_u32_e32 v0, s20, v3
	v_cvt_f64_f32_e32 v[10:11], v6
	v_cmp_eq_f32_e64 s2, 0, v7
	v_cmp_neq_f32_e32 vcc_lo, 0, v7
	v_cmp_ge_f64_e64 s1, v[8:9], v[10:11]
	s_and_b32 s1, s2, s1
	s_and_saveexec_b32 s2, s1
	s_cbranch_execz .LBB38_41
; %bb.37:
	s_mov_b32 s1, exec_lo
	s_brev_b32 s4, -2
.LBB38_38:                              ; =>This Inner Loop Header: Depth=1
	s_ff1_i32_b32 s5, s1
	v_readlane_b32 s6, v0, s5
	s_lshl_b32 s5, 1, s5
	s_andn2_b32 s1, s1, s5
	s_min_i32 s4, s4, s6
	s_cmp_lg_u32 s1, 0
	s_cbranch_scc1 .LBB38_38
; %bb.39:
	v_mbcnt_lo_u32_b32 v3, exec_lo, 0
	s_mov_b32 s5, exec_lo
	v_cmpx_eq_u32_e32 0, v3
	s_xor_b32 s5, exec_lo, s5
	s_cbranch_execz .LBB38_41
; %bb.40:
	v_mov_b32_e32 v3, 0
	v_mov_b32_e32 v8, s4
	global_atomic_smin v3, v8, s[18:19]
.LBB38_41:
	s_or_b32 exec_lo, exec_lo, s2
	v_cmp_gt_f32_e64 s1, 0, v6
	s_mov_b32 s2, exec_lo
	v_cndmask_b32_e64 v3, v6, -v6, s1
	v_cmp_gt_f32_e64 s1, 0, v7
	v_cndmask_b32_e64 v6, v7, -v7, s1
                                        ; implicit-def: $vgpr7
	v_cmpx_ngt_f32_e32 v3, v6
	s_xor_b32 s2, exec_lo, s2
	s_cbranch_execz .LBB38_45
; %bb.42:
	v_mov_b32_e32 v7, 0
	s_and_saveexec_b32 s4, vcc_lo
	s_cbranch_execz .LBB38_44
; %bb.43:
	v_div_scale_f32 v7, null, v6, v6, v3
	v_div_scale_f32 v10, vcc_lo, v3, v6, v3
	v_rcp_f32_e32 v8, v7
	v_fma_f32 v9, -v7, v8, 1.0
	v_fmac_f32_e32 v8, v9, v8
	v_mul_f32_e32 v9, v10, v8
	v_fma_f32 v11, -v7, v9, v10
	v_fmac_f32_e32 v9, v11, v8
	v_fma_f32 v7, -v7, v9, v10
	v_div_fmas_f32 v7, v7, v8, v9
	v_div_fixup_f32 v3, v7, v6, v3
	v_fma_f32 v3, v3, v3, 1.0
	v_mul_f32_e32 v7, 0x4f800000, v3
	v_cmp_gt_f32_e32 vcc_lo, 0xf800000, v3
	v_cndmask_b32_e32 v3, v3, v7, vcc_lo
	v_sqrt_f32_e32 v7, v3
	v_add_nc_u32_e32 v8, -1, v7
	v_add_nc_u32_e32 v9, 1, v7
	v_fma_f32 v10, -v8, v7, v3
	v_fma_f32 v11, -v9, v7, v3
	v_cmp_ge_f32_e64 s1, 0, v10
	v_cndmask_b32_e64 v7, v7, v8, s1
	v_cmp_lt_f32_e64 s1, 0, v11
	v_cndmask_b32_e64 v7, v7, v9, s1
	v_mul_f32_e32 v8, 0x37800000, v7
	v_cndmask_b32_e32 v7, v7, v8, vcc_lo
	v_cmp_class_f32_e64 vcc_lo, v3, 0x260
	v_cndmask_b32_e32 v3, v7, v3, vcc_lo
	v_mul_f32_e32 v7, v6, v3
.LBB38_44:
	s_or_b32 exec_lo, exec_lo, s4
                                        ; implicit-def: $vgpr3
                                        ; implicit-def: $vgpr6
.LBB38_45:
	s_andn2_saveexec_b32 s2, s2
	s_cbranch_execz .LBB38_47
; %bb.46:
	v_div_scale_f32 v7, null, v3, v3, v6
	v_div_scale_f32 v10, vcc_lo, v6, v3, v6
	v_rcp_f32_e32 v8, v7
	v_fma_f32 v9, -v7, v8, 1.0
	v_fmac_f32_e32 v8, v9, v8
	v_mul_f32_e32 v9, v10, v8
	v_fma_f32 v11, -v7, v9, v10
	v_fmac_f32_e32 v9, v11, v8
	v_fma_f32 v7, -v7, v9, v10
	v_div_fmas_f32 v7, v7, v8, v9
	v_div_fixup_f32 v6, v7, v3, v6
	v_fma_f32 v6, v6, v6, 1.0
	v_mul_f32_e32 v7, 0x4f800000, v6
	v_cmp_gt_f32_e32 vcc_lo, 0xf800000, v6
	v_cndmask_b32_e32 v6, v6, v7, vcc_lo
	v_sqrt_f32_e32 v7, v6
	v_add_nc_u32_e32 v8, -1, v7
	v_add_nc_u32_e32 v9, 1, v7
	v_fma_f32 v10, -v8, v7, v6
	v_fma_f32 v11, -v9, v7, v6
	v_cmp_ge_f32_e64 s1, 0, v10
	v_cndmask_b32_e64 v7, v7, v8, s1
	v_cmp_lt_f32_e64 s1, 0, v11
	v_cndmask_b32_e64 v7, v7, v9, s1
	v_mul_f32_e32 v8, 0x37800000, v7
	v_cndmask_b32_e32 v7, v7, v8, vcc_lo
	v_cmp_class_f32_e64 vcc_lo, v6, 0x260
	v_cndmask_b32_e32 v6, v7, v6, vcc_lo
	v_mul_f32_e32 v7, v3, v6
.LBB38_47:
	s_or_b32 exec_lo, exec_lo, s2
	v_mul_f32_e32 v3, 0x4f800000, v7
	v_cmp_gt_f32_e32 vcc_lo, 0xf800000, v7
	v_cndmask_b32_e32 v3, v7, v3, vcc_lo
	v_sqrt_f32_e32 v6, v3
	v_add_nc_u32_e32 v8, -1, v6
	v_add_nc_u32_e32 v9, 1, v6
	v_fma_f32 v10, -v8, v6, v3
	v_fma_f32 v11, -v9, v6, v3
	v_cmp_ge_f32_e64 s1, 0, v10
	v_cndmask_b32_e64 v6, v6, v8, s1
	v_cmp_lt_f32_e64 s1, 0, v11
	v_cndmask_b32_e64 v6, v6, v9, s1
	v_mov_b32_e32 v9, 0
	v_mul_f32_e32 v8, 0x37800000, v6
	v_cndmask_b32_e32 v6, v6, v8, vcc_lo
	v_cmp_class_f32_e64 vcc_lo, v3, 0x260
	v_cndmask_b32_e32 v8, v6, v3, vcc_lo
	v_cmp_eq_f32_e32 vcc_lo, 0, v7
	global_store_dwordx2 v[4:5], v[8:9], off
	s_and_b32 exec_lo, exec_lo, vcc_lo
	s_cbranch_execz .LBB38_52
; %bb.48:
	s_mov_b32 s2, exec_lo
	s_brev_b32 s1, -2
.LBB38_49:                              ; =>This Inner Loop Header: Depth=1
	s_ff1_i32_b32 s4, s2
	v_readlane_b32 s5, v0, s4
	s_lshl_b32 s4, 1, s4
	s_andn2_b32 s2, s2, s4
	s_min_i32 s1, s1, s5
	s_cmp_lg_u32 s2, 0
	s_cbranch_scc1 .LBB38_49
; %bb.50:
	v_mbcnt_lo_u32_b32 v0, exec_lo, 0
	s_mov_b32 s2, exec_lo
	v_cmpx_eq_u32_e32 0, v0
	s_xor_b32 s2, exec_lo, s2
	s_cbranch_execz .LBB38_52
; %bb.51:
	v_mov_b32_e32 v0, 0
	v_mov_b32_e32 v3, s1
	global_atomic_smin v0, v3, s[16:17]
.LBB38_52:
	s_or_b32 exec_lo, exec_lo, s3
	s_and_b32 exec_lo, exec_lo, s0
	s_cbranch_execz .LBB38_54
; %bb.53:
	v_add_co_u32 v0, vcc_lo, s12, v1
	v_add_co_ci_u32_e64 v1, null, s13, v2, vcc_lo
	v_mov_b32_e32 v2, 1
	s_waitcnt lgkmcnt(0)
	s_waitcnt_vscnt null, 0x0
	global_store_dword v[0:1], v2, off
.LBB38_54:
	s_endpgm
	.section	.rodata,"a",@progbits
	.p2align	6, 0x0
	.amdhsa_kernel _ZN9rocsparseL23csric0_binsearch_kernelILj256ELj64ELb0E21rocsparse_complex_numIfEEEviPKiS4_PT2_S4_PiS4_S7_S7_d21rocsparse_index_base_
		.amdhsa_group_segment_fixed_size 0
		.amdhsa_private_segment_fixed_size 0
		.amdhsa_kernarg_size 84
		.amdhsa_user_sgpr_count 6
		.amdhsa_user_sgpr_private_segment_buffer 1
		.amdhsa_user_sgpr_dispatch_ptr 0
		.amdhsa_user_sgpr_queue_ptr 0
		.amdhsa_user_sgpr_kernarg_segment_ptr 1
		.amdhsa_user_sgpr_dispatch_id 0
		.amdhsa_user_sgpr_flat_scratch_init 0
		.amdhsa_user_sgpr_private_segment_size 0
		.amdhsa_wavefront_size32 1
		.amdhsa_uses_dynamic_stack 0
		.amdhsa_system_sgpr_private_segment_wavefront_offset 0
		.amdhsa_system_sgpr_workgroup_id_x 1
		.amdhsa_system_sgpr_workgroup_id_y 0
		.amdhsa_system_sgpr_workgroup_id_z 0
		.amdhsa_system_sgpr_workgroup_info 0
		.amdhsa_system_vgpr_workitem_id 0
		.amdhsa_next_free_vgpr 33
		.amdhsa_next_free_sgpr 28
		.amdhsa_reserve_vcc 1
		.amdhsa_reserve_flat_scratch 0
		.amdhsa_float_round_mode_32 0
		.amdhsa_float_round_mode_16_64 0
		.amdhsa_float_denorm_mode_32 3
		.amdhsa_float_denorm_mode_16_64 3
		.amdhsa_dx10_clamp 1
		.amdhsa_ieee_mode 1
		.amdhsa_fp16_overflow 0
		.amdhsa_workgroup_processor_mode 1
		.amdhsa_memory_ordered 1
		.amdhsa_forward_progress 1
		.amdhsa_shared_vgpr_count 0
		.amdhsa_exception_fp_ieee_invalid_op 0
		.amdhsa_exception_fp_denorm_src 0
		.amdhsa_exception_fp_ieee_div_zero 0
		.amdhsa_exception_fp_ieee_overflow 0
		.amdhsa_exception_fp_ieee_underflow 0
		.amdhsa_exception_fp_ieee_inexact 0
		.amdhsa_exception_int_div_zero 0
	.end_amdhsa_kernel
	.section	.text._ZN9rocsparseL23csric0_binsearch_kernelILj256ELj64ELb0E21rocsparse_complex_numIfEEEviPKiS4_PT2_S4_PiS4_S7_S7_d21rocsparse_index_base_,"axG",@progbits,_ZN9rocsparseL23csric0_binsearch_kernelILj256ELj64ELb0E21rocsparse_complex_numIfEEEviPKiS4_PT2_S4_PiS4_S7_S7_d21rocsparse_index_base_,comdat
.Lfunc_end38:
	.size	_ZN9rocsparseL23csric0_binsearch_kernelILj256ELj64ELb0E21rocsparse_complex_numIfEEEviPKiS4_PT2_S4_PiS4_S7_S7_d21rocsparse_index_base_, .Lfunc_end38-_ZN9rocsparseL23csric0_binsearch_kernelILj256ELj64ELb0E21rocsparse_complex_numIfEEEviPKiS4_PT2_S4_PiS4_S7_S7_d21rocsparse_index_base_
                                        ; -- End function
	.set _ZN9rocsparseL23csric0_binsearch_kernelILj256ELj64ELb0E21rocsparse_complex_numIfEEEviPKiS4_PT2_S4_PiS4_S7_S7_d21rocsparse_index_base_.num_vgpr, 33
	.set _ZN9rocsparseL23csric0_binsearch_kernelILj256ELj64ELb0E21rocsparse_complex_numIfEEEviPKiS4_PT2_S4_PiS4_S7_S7_d21rocsparse_index_base_.num_agpr, 0
	.set _ZN9rocsparseL23csric0_binsearch_kernelILj256ELj64ELb0E21rocsparse_complex_numIfEEEviPKiS4_PT2_S4_PiS4_S7_S7_d21rocsparse_index_base_.numbered_sgpr, 28
	.set _ZN9rocsparseL23csric0_binsearch_kernelILj256ELj64ELb0E21rocsparse_complex_numIfEEEviPKiS4_PT2_S4_PiS4_S7_S7_d21rocsparse_index_base_.num_named_barrier, 0
	.set _ZN9rocsparseL23csric0_binsearch_kernelILj256ELj64ELb0E21rocsparse_complex_numIfEEEviPKiS4_PT2_S4_PiS4_S7_S7_d21rocsparse_index_base_.private_seg_size, 0
	.set _ZN9rocsparseL23csric0_binsearch_kernelILj256ELj64ELb0E21rocsparse_complex_numIfEEEviPKiS4_PT2_S4_PiS4_S7_S7_d21rocsparse_index_base_.uses_vcc, 1
	.set _ZN9rocsparseL23csric0_binsearch_kernelILj256ELj64ELb0E21rocsparse_complex_numIfEEEviPKiS4_PT2_S4_PiS4_S7_S7_d21rocsparse_index_base_.uses_flat_scratch, 0
	.set _ZN9rocsparseL23csric0_binsearch_kernelILj256ELj64ELb0E21rocsparse_complex_numIfEEEviPKiS4_PT2_S4_PiS4_S7_S7_d21rocsparse_index_base_.has_dyn_sized_stack, 0
	.set _ZN9rocsparseL23csric0_binsearch_kernelILj256ELj64ELb0E21rocsparse_complex_numIfEEEviPKiS4_PT2_S4_PiS4_S7_S7_d21rocsparse_index_base_.has_recursion, 0
	.set _ZN9rocsparseL23csric0_binsearch_kernelILj256ELj64ELb0E21rocsparse_complex_numIfEEEviPKiS4_PT2_S4_PiS4_S7_S7_d21rocsparse_index_base_.has_indirect_call, 0
	.section	.AMDGPU.csdata,"",@progbits
; Kernel info:
; codeLenInByte = 2692
; TotalNumSgprs: 30
; NumVgprs: 33
; ScratchSize: 0
; MemoryBound: 0
; FloatMode: 240
; IeeeMode: 1
; LDSByteSize: 0 bytes/workgroup (compile time only)
; SGPRBlocks: 0
; VGPRBlocks: 4
; NumSGPRsForWavesPerEU: 30
; NumVGPRsForWavesPerEU: 33
; Occupancy: 16
; WaveLimiterHint : 1
; COMPUTE_PGM_RSRC2:SCRATCH_EN: 0
; COMPUTE_PGM_RSRC2:USER_SGPR: 6
; COMPUTE_PGM_RSRC2:TRAP_HANDLER: 0
; COMPUTE_PGM_RSRC2:TGID_X_EN: 1
; COMPUTE_PGM_RSRC2:TGID_Y_EN: 0
; COMPUTE_PGM_RSRC2:TGID_Z_EN: 0
; COMPUTE_PGM_RSRC2:TIDIG_COMP_CNT: 0
	.section	.text._ZN9rocsparseL23csric0_binsearch_kernelILj256ELj64ELb1E21rocsparse_complex_numIdEEEviPKiS4_PT2_S4_PiS4_S7_S7_d21rocsparse_index_base_,"axG",@progbits,_ZN9rocsparseL23csric0_binsearch_kernelILj256ELj64ELb1E21rocsparse_complex_numIdEEEviPKiS4_PT2_S4_PiS4_S7_S7_d21rocsparse_index_base_,comdat
	.globl	_ZN9rocsparseL23csric0_binsearch_kernelILj256ELj64ELb1E21rocsparse_complex_numIdEEEviPKiS4_PT2_S4_PiS4_S7_S7_d21rocsparse_index_base_ ; -- Begin function _ZN9rocsparseL23csric0_binsearch_kernelILj256ELj64ELb1E21rocsparse_complex_numIdEEEviPKiS4_PT2_S4_PiS4_S7_S7_d21rocsparse_index_base_
	.p2align	8
	.type	_ZN9rocsparseL23csric0_binsearch_kernelILj256ELj64ELb1E21rocsparse_complex_numIdEEEviPKiS4_PT2_S4_PiS4_S7_S7_d21rocsparse_index_base_,@function
_ZN9rocsparseL23csric0_binsearch_kernelILj256ELj64ELb1E21rocsparse_complex_numIdEEEviPKiS4_PT2_S4_PiS4_S7_S7_d21rocsparse_index_base_: ; @_ZN9rocsparseL23csric0_binsearch_kernelILj256ELj64ELb1E21rocsparse_complex_numIdEEEviPKiS4_PT2_S4_PiS4_S7_S7_d21rocsparse_index_base_
; %bb.0:
	s_load_dword s0, s[4:5], 0x0
	v_lshrrev_b32_e32 v1, 6, v0
	s_lshl_b32 s1, s6, 2
	v_and_or_b32 v1, 0x3fffffc, s1, v1
	s_waitcnt lgkmcnt(0)
	v_cmp_gt_i32_e32 vcc_lo, s0, v1
	s_and_saveexec_b32 s0, vcc_lo
	s_cbranch_execz .LBB39_55
; %bb.1:
	s_load_dwordx8 s[8:15], s[4:5], 0x18
	v_lshlrev_b32_e32 v1, 2, v1
	v_mov_b32_e32 v13, 0
	v_mov_b32_e32 v15, 0
	v_and_b32_e32 v12, 63, v0
	v_mov_b32_e32 v14, 0
	v_mov_b32_e32 v16, 0
	s_mov_b32 s20, exec_lo
	s_waitcnt lgkmcnt(0)
	global_load_dword v10, v1, s[14:15]
	s_load_dwordx2 s[14:15], s[4:5], 0x8
	s_waitcnt vmcnt(0)
	v_ashrrev_i32_e32 v11, 31, v10
	v_lshlrev_b64 v[8:9], 2, v[10:11]
	s_waitcnt lgkmcnt(0)
	v_add_co_u32 v1, vcc_lo, s14, v8
	v_add_co_ci_u32_e64 v2, null, s15, v9, vcc_lo
	v_add_co_u32 v3, vcc_lo, s10, v8
	v_add_co_ci_u32_e64 v4, null, s11, v9, vcc_lo
	global_load_dword v5, v[1:2], off
	global_load_dword v11, v[3:4], off
	s_clause 0x2
	s_load_dword s3, s[4:5], 0x50
	s_load_dwordx4 s[16:19], s[4:5], 0x38
	s_load_dwordx2 s[6:7], s[4:5], 0x48
	s_waitcnt vmcnt(1) lgkmcnt(0)
	v_subrev_nc_u32_e32 v29, s3, v5
	s_waitcnt vmcnt(0)
	v_cmpx_lt_i32_e64 v29, v11
	s_cbranch_execz .LBB39_36
; %bb.2:
	global_load_dword v0, v[1:2], off offset:4
	s_load_dwordx2 s[4:5], s[4:5], 0x10
	v_mov_b32_e32 v13, 0
	v_mov_b32_e32 v15, 0
	v_add_nc_u32_e32 v30, -1, v11
	v_cmp_eq_u32_e64 s0, 0, v12
	v_subrev_nc_u32_e32 v31, s3, v12
	v_cmp_eq_u32_e64 s1, 63, v12
	v_mov_b32_e32 v14, 0
	v_mov_b32_e32 v32, 0
	v_mbcnt_lo_u32_b32 v33, -1, 0
	v_mov_b32_e32 v16, 0
	v_mov_b32_e32 v17, v29
	s_mov_b32 s21, 0
	s_waitcnt vmcnt(0)
	v_xad_u32 v34, s3, -1, v0
	s_branch .LBB39_5
.LBB39_3:                               ;   in Loop: Header=BB39_5 Depth=1
	s_or_b32 exec_lo, exec_lo, s23
.LBB39_4:                               ;   in Loop: Header=BB39_5 Depth=1
	s_or_b32 exec_lo, exec_lo, s2
	v_add_nc_u32_e32 v17, 1, v17
	v_cmp_ge_i32_e32 vcc_lo, v17, v11
	s_or_b32 s2, s22, vcc_lo
	s_and_b32 s2, exec_lo, s2
	s_or_b32 s21, s2, s21
	s_andn2_b32 exec_lo, exec_lo, s21
	s_cbranch_execz .LBB39_35
.LBB39_5:                               ; =>This Loop Header: Depth=1
                                        ;     Child Loop BB39_8 Depth 2
                                        ;       Child Loop BB39_9 Depth 3
                                        ;     Child Loop BB39_13 Depth 2
                                        ;     Child Loop BB39_19 Depth 2
                                        ;       Child Loop BB39_21 Depth 3
                                        ;     Child Loop BB39_32 Depth 2
	v_ashrrev_i32_e32 v18, 31, v17
	s_mov_b32 s2, exec_lo
	v_lshlrev_b64 v[0:1], 2, v[17:18]
	v_lshlrev_b64 v[2:3], 4, v[17:18]
	s_waitcnt lgkmcnt(0)
	v_add_co_u32 v0, vcc_lo, s4, v0
	v_add_co_ci_u32_e64 v1, null, s5, v1, vcc_lo
	v_add_co_u32 v18, vcc_lo, s8, v2
	v_add_co_ci_u32_e64 v19, null, s9, v3, vcc_lo
	global_load_dword v22, v[0:1], off
	s_waitcnt vmcnt(0)
	v_subrev_nc_u32_e32 v0, s3, v22
	v_ashrrev_i32_e32 v1, 31, v0
	v_lshlrev_b64 v[0:1], 2, v[0:1]
	v_add_co_u32 v6, vcc_lo, s14, v0
	v_add_co_ci_u32_e64 v7, null, s15, v1, vcc_lo
	v_add_co_u32 v20, vcc_lo, s10, v0
	v_add_co_ci_u32_e64 v21, null, s11, v1, vcc_lo
	;; [unrolled: 2-line block ×3, first 2 shown]
	global_load_dwordx4 v[0:3], v[18:19], off
	global_load_dword v23, v[6:7], off
	global_load_dword v6, v[20:21], off
	global_load_dword v7, v[4:5], off glc dlc
	s_waitcnt vmcnt(0)
	v_cmpx_eq_u32_e32 0, v7
	s_cbranch_execz .LBB39_10
; %bb.6:                                ;   in Loop: Header=BB39_5 Depth=1
	s_mov_b32 s22, 0
	s_mov_b32 s23, 0
	s_branch .LBB39_8
	.p2align	6
.LBB39_7:                               ;   in Loop: Header=BB39_8 Depth=2
	global_load_dword v7, v[4:5], off glc dlc
	s_cmpk_lt_u32 s23, 0xf43
	s_cselect_b32 s24, -1, 0
	s_cmp_lg_u32 s24, 0
	s_addc_u32 s23, s23, 0
	s_waitcnt vmcnt(0)
	v_cmp_ne_u32_e32 vcc_lo, 0, v7
	s_or_b32 s22, vcc_lo, s22
	s_andn2_b32 exec_lo, exec_lo, s22
	s_cbranch_execz .LBB39_10
.LBB39_8:                               ;   Parent Loop BB39_5 Depth=1
                                        ; =>  This Loop Header: Depth=2
                                        ;       Child Loop BB39_9 Depth 3
	s_cmp_eq_u32 s23, 0
	s_mov_b32 s24, s23
	s_cbranch_scc1 .LBB39_7
.LBB39_9:                               ;   Parent Loop BB39_5 Depth=1
                                        ;     Parent Loop BB39_8 Depth=2
                                        ; =>    This Inner Loop Header: Depth=3
	s_add_i32 s24, s24, -1
	s_sleep 1
	s_cmp_eq_u32 s24, 0
	s_cbranch_scc0 .LBB39_9
	s_branch .LBB39_7
.LBB39_10:                              ;   in Loop: Header=BB39_5 Depth=1
	s_or_b32 exec_lo, exec_lo, s2
	v_cmp_eq_u32_e32 vcc_lo, -1, v6
	buffer_gl1_inv
	buffer_gl0_inv
	v_cndmask_b32_e32 v20, v6, v30, vcc_lo
	v_ashrrev_i32_e32 v21, 31, v20
	v_lshlrev_b64 v[4:5], 4, v[20:21]
	v_add_co_u32 v4, vcc_lo, s8, v4
	v_add_co_ci_u32_e64 v5, null, s9, v5, vcc_lo
	global_load_dwordx4 v[4:7], v[4:5], off
	s_waitcnt vmcnt(0)
	v_cmp_eq_f64_e64 s2, 0, v[4:5]
	v_cmp_eq_f64_e32 vcc_lo, 0, v[6:7]
	s_and_b32 s22, s2, vcc_lo
	s_xor_b32 s2, s22, -1
	s_and_saveexec_b32 s23, s2
	s_xor_b32 s23, exec_lo, s23
	s_cbranch_execz .LBB39_29
; %bb.11:                               ;   in Loop: Header=BB39_5 Depth=1
	v_cmp_ge_f64_e64 s2, s[6:7], v[4:5]
	s_and_b32 s2, s0, s2
	s_and_b32 s24, vcc_lo, s2
	s_and_saveexec_b32 s2, s24
	s_cbranch_execz .LBB39_16
; %bb.12:                               ;   in Loop: Header=BB39_5 Depth=1
	s_mov_b32 s25, exec_lo
	s_brev_b32 s24, -2
.LBB39_13:                              ;   Parent Loop BB39_5 Depth=1
                                        ; =>  This Inner Loop Header: Depth=2
	s_ff1_i32_b32 s26, s25
	v_readlane_b32 s27, v22, s26
	s_lshl_b32 s26, 1, s26
	s_andn2_b32 s25, s25, s26
	s_min_i32 s24, s24, s27
	s_cmp_lg_u32 s25, 0
	s_cbranch_scc1 .LBB39_13
; %bb.14:                               ;   in Loop: Header=BB39_5 Depth=1
	v_mbcnt_lo_u32_b32 v21, exec_lo, 0
	s_mov_b32 s25, exec_lo
	v_cmpx_eq_u32_e32 0, v21
	s_xor_b32 s25, exec_lo, s25
	s_cbranch_execz .LBB39_16
; %bb.15:                               ;   in Loop: Header=BB39_5 Depth=1
	v_mov_b32_e32 v21, s24
	global_atomic_smin v32, v21, s[18:19]
.LBB39_16:                              ;   in Loop: Header=BB39_5 Depth=1
	s_or_b32 exec_lo, exec_lo, s2
	v_add_nc_u32_e32 v25, v31, v23
	v_mov_b32_e32 v21, 0
	v_mov_b32_e32 v23, 0
	;; [unrolled: 1-line block ×4, first 2 shown]
	s_mov_b32 s2, exec_lo
	v_cmpx_lt_i32_e64 v25, v20
	s_cbranch_execz .LBB39_26
; %bb.17:                               ;   in Loop: Header=BB39_5 Depth=1
	v_mov_b32_e32 v21, 0
	v_mov_b32_e32 v23, 0
	v_mov_b32_e32 v22, 0
	v_mov_b32_e32 v24, 0
	v_mov_b32_e32 v35, v29
	s_mov_b32 s24, 0
	s_branch .LBB39_19
.LBB39_18:                              ;   in Loop: Header=BB39_19 Depth=2
	s_or_b32 exec_lo, exec_lo, s25
	v_add_nc_u32_e32 v25, 64, v25
	v_cmp_ge_i32_e32 vcc_lo, v25, v20
	s_or_b32 s24, vcc_lo, s24
	s_andn2_b32 exec_lo, exec_lo, s24
	s_cbranch_execz .LBB39_25
.LBB39_19:                              ;   Parent Loop BB39_5 Depth=1
                                        ; =>  This Loop Header: Depth=2
                                        ;       Child Loop BB39_21 Depth 3
	v_add_nc_u32_e32 v26, v35, v34
	s_mov_b32 s25, exec_lo
	v_ashrrev_i32_e32 v27, 1, v26
	v_ashrrev_i32_e32 v26, 31, v25
	;; [unrolled: 1-line block ×3, first 2 shown]
	v_lshlrev_b64 v[36:37], 2, v[25:26]
	v_lshlrev_b64 v[38:39], 2, v[27:28]
	v_add_co_u32 v36, vcc_lo, s4, v36
	v_add_co_ci_u32_e64 v37, null, s5, v37, vcc_lo
	v_add_co_u32 v38, vcc_lo, s4, v38
	v_add_co_ci_u32_e64 v39, null, s5, v39, vcc_lo
	s_clause 0x1
	global_load_dword v36, v[36:37], off
	global_load_dword v37, v[38:39], off
	v_cmpx_lt_i32_e64 v35, v34
	s_cbranch_execz .LBB39_23
; %bb.20:                               ;   in Loop: Header=BB39_19 Depth=2
	v_mov_b32_e32 v38, v34
	s_mov_b32 s26, 0
	.p2align	6
.LBB39_21:                              ;   Parent Loop BB39_5 Depth=1
                                        ;     Parent Loop BB39_19 Depth=2
                                        ; =>    This Inner Loop Header: Depth=3
	v_add_nc_u32_e32 v28, 1, v27
	s_waitcnt vmcnt(0)
	v_cmp_lt_i32_e32 vcc_lo, v37, v36
	v_cndmask_b32_e32 v38, v27, v38, vcc_lo
	v_cndmask_b32_e32 v35, v35, v28, vcc_lo
	v_add_nc_u32_e32 v27, v38, v35
	v_ashrrev_i32_e32 v27, 1, v27
	v_ashrrev_i32_e32 v28, 31, v27
	v_lshlrev_b64 v[39:40], 2, v[27:28]
	v_add_co_u32 v39, vcc_lo, s4, v39
	v_add_co_ci_u32_e64 v40, null, s5, v40, vcc_lo
	v_cmp_ge_i32_e32 vcc_lo, v35, v38
	global_load_dword v37, v[39:40], off
	s_or_b32 s26, vcc_lo, s26
	s_andn2_b32 exec_lo, exec_lo, s26
	s_cbranch_execnz .LBB39_21
; %bb.22:                               ;   in Loop: Header=BB39_19 Depth=2
	s_or_b32 exec_lo, exec_lo, s26
.LBB39_23:                              ;   in Loop: Header=BB39_19 Depth=2
	s_or_b32 exec_lo, exec_lo, s25
	s_mov_b32 s25, exec_lo
	s_waitcnt vmcnt(0)
	v_cmpx_eq_u32_e64 v37, v36
	s_cbranch_execz .LBB39_18
; %bb.24:                               ;   in Loop: Header=BB39_19 Depth=2
	v_lshlrev_b64 v[36:37], 4, v[25:26]
	v_lshlrev_b64 v[26:27], 4, v[27:28]
	v_add_co_u32 v36, vcc_lo, s8, v36
	v_add_co_ci_u32_e64 v37, null, s9, v37, vcc_lo
	v_add_co_u32 v26, vcc_lo, s8, v26
	v_add_co_ci_u32_e64 v27, null, s9, v27, vcc_lo
	s_clause 0x1
	global_load_dwordx4 v[36:39], v[36:37], off
	global_load_dwordx4 v[40:43], v[26:27], off
	s_waitcnt vmcnt(0)
	v_fma_f64 v[23:24], v[36:37], v[40:41], v[23:24]
	v_fma_f64 v[21:22], v[38:39], v[40:41], v[21:22]
	;; [unrolled: 1-line block ×3, first 2 shown]
	v_fma_f64 v[21:22], v[36:37], -v[42:43], v[21:22]
	s_branch .LBB39_18
.LBB39_25:                              ;   in Loop: Header=BB39_5 Depth=1
	s_or_b32 exec_lo, exec_lo, s24
.LBB39_26:                              ;   in Loop: Header=BB39_5 Depth=1
	s_or_b32 exec_lo, exec_lo, s2
	v_or_b32_e32 v20, 32, v33
	v_cmp_gt_i32_e32 vcc_lo, 32, v20
	v_cndmask_b32_e32 v20, v33, v20, vcc_lo
	v_lshlrev_b32_e32 v20, 2, v20
	ds_bpermute_b32 v25, v20, v23
	ds_bpermute_b32 v26, v20, v24
	;; [unrolled: 1-line block ×4, first 2 shown]
	s_waitcnt lgkmcnt(2)
	v_add_f64 v[23:24], v[23:24], v[25:26]
	s_waitcnt lgkmcnt(0)
	v_add_f64 v[20:21], v[21:22], v[27:28]
	v_xor_b32_e32 v22, 16, v33
	v_cmp_gt_i32_e32 vcc_lo, 32, v22
	v_cndmask_b32_e32 v22, v33, v22, vcc_lo
	v_lshlrev_b32_e32 v22, 2, v22
	ds_bpermute_b32 v25, v22, v23
	ds_bpermute_b32 v26, v22, v24
	;; [unrolled: 1-line block ×4, first 2 shown]
	s_waitcnt lgkmcnt(2)
	v_add_f64 v[22:23], v[23:24], v[25:26]
	v_xor_b32_e32 v24, 8, v33
	s_waitcnt lgkmcnt(0)
	v_add_f64 v[20:21], v[20:21], v[27:28]
	v_cmp_gt_i32_e32 vcc_lo, 32, v24
	v_cndmask_b32_e32 v24, v33, v24, vcc_lo
	v_lshlrev_b32_e32 v27, 2, v24
	ds_bpermute_b32 v24, v27, v22
	ds_bpermute_b32 v25, v27, v23
	;; [unrolled: 1-line block ×4, first 2 shown]
	s_waitcnt lgkmcnt(2)
	v_add_f64 v[22:23], v[22:23], v[24:25]
	v_xor_b32_e32 v24, 4, v33
	s_waitcnt lgkmcnt(0)
	v_add_f64 v[20:21], v[20:21], v[26:27]
	v_cmp_gt_i32_e32 vcc_lo, 32, v24
	v_cndmask_b32_e32 v24, v33, v24, vcc_lo
	v_lshlrev_b32_e32 v27, 2, v24
	ds_bpermute_b32 v24, v27, v22
	ds_bpermute_b32 v25, v27, v23
	;; [unrolled: 1-line block ×4, first 2 shown]
	s_waitcnt lgkmcnt(2)
	v_add_f64 v[22:23], v[22:23], v[24:25]
	s_waitcnt lgkmcnt(0)
	v_add_f64 v[24:25], v[20:21], v[26:27]
	v_xor_b32_e32 v20, 2, v33
	v_cmp_gt_i32_e32 vcc_lo, 32, v20
	v_cndmask_b32_e32 v20, v33, v20, vcc_lo
	v_lshlrev_b32_e32 v27, 2, v20
	ds_bpermute_b32 v20, v27, v22
	ds_bpermute_b32 v21, v27, v23
	ds_bpermute_b32 v26, v27, v24
	ds_bpermute_b32 v27, v27, v25
	s_waitcnt lgkmcnt(2)
	v_add_f64 v[20:21], v[22:23], v[20:21]
	s_waitcnt lgkmcnt(0)
	v_add_f64 v[22:23], v[24:25], v[26:27]
	v_xor_b32_e32 v24, 1, v33
	v_cmp_gt_i32_e32 vcc_lo, 32, v24
	v_cndmask_b32_e32 v24, v33, v24, vcc_lo
	v_lshlrev_b32_e32 v27, 2, v24
	ds_bpermute_b32 v24, v27, v20
	ds_bpermute_b32 v25, v27, v21
	;; [unrolled: 1-line block ×4, first 2 shown]
	s_and_saveexec_b32 s2, s1
	s_cbranch_execz .LBB39_28
; %bb.27:                               ;   in Loop: Header=BB39_5 Depth=1
	v_mul_f64 v[35:36], v[6:7], v[6:7]
	s_waitcnt lgkmcnt(0)
	v_add_f64 v[22:23], v[22:23], v[26:27]
	v_add_f64 v[20:21], v[20:21], v[24:25]
	v_fma_f64 v[35:36], v[4:5], v[4:5], v[35:36]
	v_add_f64 v[2:3], v[2:3], -v[22:23]
	v_add_f64 v[0:1], v[0:1], -v[20:21]
	v_div_scale_f64 v[37:38], null, v[35:36], v[35:36], 1.0
	v_div_scale_f64 v[43:44], vcc_lo, 1.0, v[35:36], 1.0
	v_rcp_f64_e32 v[39:40], v[37:38]
	v_fma_f64 v[41:42], -v[37:38], v[39:40], 1.0
	v_fma_f64 v[39:40], v[39:40], v[41:42], v[39:40]
	v_fma_f64 v[41:42], -v[37:38], v[39:40], 1.0
	v_fma_f64 v[39:40], v[39:40], v[41:42], v[39:40]
	v_mul_f64 v[41:42], v[43:44], v[39:40]
	v_fma_f64 v[37:38], -v[37:38], v[41:42], v[43:44]
	v_div_fmas_f64 v[37:38], v[37:38], v[39:40], v[41:42]
	v_fma_f64 v[39:40], v[4:5], 0, -v[6:7]
	v_fma_f64 v[4:5], v[6:7], 0, v[4:5]
	v_div_fixup_f64 v[26:27], v[37:38], v[35:36], 1.0
	v_mul_f64 v[6:7], v[39:40], v[26:27]
	v_mul_f64 v[4:5], v[4:5], v[26:27]
	v_mul_f64 v[20:21], v[6:7], -v[2:3]
	v_mul_f64 v[6:7], v[6:7], v[0:1]
	v_fma_f64 v[0:1], v[0:1], v[4:5], v[20:21]
	v_fma_f64 v[2:3], v[2:3], v[4:5], v[6:7]
	;; [unrolled: 1-line block ×4, first 2 shown]
	global_store_dwordx4 v[18:19], v[0:3], off
	v_fma_f64 v[15:16], v[2:3], v[2:3], v[4:5]
	v_fma_f64 v[13:14], v[0:1], -v[2:3], v[6:7]
.LBB39_28:                              ;   in Loop: Header=BB39_5 Depth=1
	s_or_b32 exec_lo, exec_lo, s2
                                        ; implicit-def: $vgpr22
.LBB39_29:                              ;   in Loop: Header=BB39_5 Depth=1
	s_andn2_saveexec_b32 s2, s23
	s_cbranch_execz .LBB39_4
; %bb.30:                               ;   in Loop: Header=BB39_5 Depth=1
	s_and_saveexec_b32 s23, s0
	s_cbranch_execz .LBB39_3
; %bb.31:                               ;   in Loop: Header=BB39_5 Depth=1
	s_mov_b32 s25, exec_lo
	s_brev_b32 s24, -2
.LBB39_32:                              ;   Parent Loop BB39_5 Depth=1
                                        ; =>  This Inner Loop Header: Depth=2
	s_ff1_i32_b32 s26, s25
	v_readlane_b32 s27, v22, s26
	s_lshl_b32 s26, 1, s26
	s_andn2_b32 s25, s25, s26
	s_min_i32 s24, s24, s27
	s_cmp_lg_u32 s25, 0
	s_cbranch_scc1 .LBB39_32
; %bb.33:                               ;   in Loop: Header=BB39_5 Depth=1
	v_mbcnt_lo_u32_b32 v0, exec_lo, 0
	s_mov_b32 s25, exec_lo
	v_cmpx_eq_u32_e32 0, v0
	s_xor_b32 s25, exec_lo, s25
	s_cbranch_execz .LBB39_3
; %bb.34:                               ;   in Loop: Header=BB39_5 Depth=1
	v_mov_b32_e32 v0, s24
	global_atomic_smin v32, v0, s[16:17]
	s_branch .LBB39_3
.LBB39_35:
	s_or_b32 exec_lo, exec_lo, s21
.LBB39_36:
	s_or_b32 exec_lo, exec_lo, s20
	v_cmp_eq_u32_e64 s0, 63, v12
	v_cmp_lt_i32_e32 vcc_lo, -1, v11
	s_and_b32 s1, s0, vcc_lo
	s_and_saveexec_b32 s4, s1
	s_cbranch_execz .LBB39_53
; %bb.37:
	v_mov_b32_e32 v12, 0
	v_mul_f64 v[6:7], s[6:7], s[6:7]
	v_lshlrev_b64 v[0:1], 4, v[11:12]
	v_add_co_u32 v0, vcc_lo, s8, v0
	v_add_co_ci_u32_e64 v1, null, s9, v1, vcc_lo
	global_load_dwordx4 v[2:5], v[0:1], off
	s_waitcnt vmcnt(0)
	v_add_f64 v[4:5], v[4:5], -v[13:14]
	v_add_f64 v[2:3], v[2:3], -v[15:16]
	v_cmp_eq_f64_e64 s1, 0, v[4:5]
	v_cmp_le_f64_e64 s2, v[2:3], v[6:7]
	v_cmp_neq_f64_e32 vcc_lo, 0, v[4:5]
	s_and_b32 s1, s1, s2
	s_and_saveexec_b32 s2, s1
	s_cbranch_execz .LBB39_42
; %bb.38:
	v_add_nc_u32_e32 v6, s3, v10
	s_mov_b32 s1, exec_lo
	s_brev_b32 s5, -2
.LBB39_39:                              ; =>This Inner Loop Header: Depth=1
	s_ff1_i32_b32 s6, s1
	v_readlane_b32 s7, v6, s6
	s_lshl_b32 s6, 1, s6
	s_andn2_b32 s1, s1, s6
	s_min_i32 s5, s5, s7
	s_cmp_lg_u32 s1, 0
	s_cbranch_scc1 .LBB39_39
; %bb.40:
	v_mbcnt_lo_u32_b32 v6, exec_lo, 0
	s_mov_b32 s6, exec_lo
	v_cmpx_eq_u32_e32 0, v6
	s_xor_b32 s6, exec_lo, s6
	s_cbranch_execz .LBB39_42
; %bb.41:
	v_mov_b32_e32 v6, 0
	v_mov_b32_e32 v7, s5
	global_atomic_smin v6, v7, s[18:19]
.LBB39_42:
	s_or_b32 exec_lo, exec_lo, s2
	v_cmp_gt_f64_e64 s1, 0, v[2:3]
	v_xor_b32_e32 v6, 0x80000000, v3
	v_xor_b32_e32 v7, 0x80000000, v5
	v_cndmask_b32_e64 v3, v3, v6, s1
	v_cmp_gt_f64_e64 s1, 0, v[4:5]
	v_cndmask_b32_e64 v5, v5, v7, s1
                                        ; implicit-def: $vgpr6_vgpr7
	v_cmp_ngt_f64_e64 s1, v[2:3], v[4:5]
	s_and_saveexec_b32 s2, s1
	s_xor_b32 s1, exec_lo, s2
	s_cbranch_execz .LBB39_46
; %bb.43:
	v_mov_b32_e32 v6, 0
	v_mov_b32_e32 v7, 0
	s_and_saveexec_b32 s2, vcc_lo
	s_cbranch_execz .LBB39_45
; %bb.44:
	v_div_scale_f64 v[6:7], null, v[4:5], v[4:5], v[2:3]
	v_div_scale_f64 v[15:16], vcc_lo, v[2:3], v[4:5], v[2:3]
	v_rcp_f64_e32 v[11:12], v[6:7]
	v_fma_f64 v[13:14], -v[6:7], v[11:12], 1.0
	v_fma_f64 v[11:12], v[11:12], v[13:14], v[11:12]
	v_fma_f64 v[13:14], -v[6:7], v[11:12], 1.0
	v_fma_f64 v[11:12], v[11:12], v[13:14], v[11:12]
	v_mul_f64 v[13:14], v[15:16], v[11:12]
	v_fma_f64 v[6:7], -v[6:7], v[13:14], v[15:16]
	v_div_fmas_f64 v[6:7], v[6:7], v[11:12], v[13:14]
	v_div_fixup_f64 v[2:3], v[6:7], v[4:5], v[2:3]
	v_fma_f64 v[2:3], v[2:3], v[2:3], 1.0
	v_cmp_gt_f64_e32 vcc_lo, 0x10000000, v[2:3]
	v_cndmask_b32_e64 v6, 0, 0x100, vcc_lo
	v_ldexp_f64 v[2:3], v[2:3], v6
	v_rsq_f64_e32 v[6:7], v[2:3]
	v_mul_f64 v[11:12], v[2:3], v[6:7]
	v_mul_f64 v[6:7], v[6:7], 0.5
	v_fma_f64 v[13:14], -v[6:7], v[11:12], 0.5
	v_fma_f64 v[11:12], v[11:12], v[13:14], v[11:12]
	v_fma_f64 v[6:7], v[6:7], v[13:14], v[6:7]
	v_fma_f64 v[13:14], -v[11:12], v[11:12], v[2:3]
	v_fma_f64 v[11:12], v[13:14], v[6:7], v[11:12]
	v_fma_f64 v[13:14], -v[11:12], v[11:12], v[2:3]
	v_fma_f64 v[6:7], v[13:14], v[6:7], v[11:12]
	v_cndmask_b32_e64 v11, 0, 0xffffff80, vcc_lo
	v_cmp_class_f64_e64 vcc_lo, v[2:3], 0x260
	v_ldexp_f64 v[6:7], v[6:7], v11
	v_cndmask_b32_e32 v3, v7, v3, vcc_lo
	v_cndmask_b32_e32 v2, v6, v2, vcc_lo
	v_mul_f64 v[6:7], v[4:5], v[2:3]
.LBB39_45:
	s_or_b32 exec_lo, exec_lo, s2
                                        ; implicit-def: $vgpr2_vgpr3
                                        ; implicit-def: $vgpr4_vgpr5
.LBB39_46:
	s_andn2_saveexec_b32 s1, s1
	s_cbranch_execz .LBB39_48
; %bb.47:
	v_div_scale_f64 v[6:7], null, v[2:3], v[2:3], v[4:5]
	v_div_scale_f64 v[15:16], vcc_lo, v[4:5], v[2:3], v[4:5]
	v_rcp_f64_e32 v[11:12], v[6:7]
	v_fma_f64 v[13:14], -v[6:7], v[11:12], 1.0
	v_fma_f64 v[11:12], v[11:12], v[13:14], v[11:12]
	v_fma_f64 v[13:14], -v[6:7], v[11:12], 1.0
	v_fma_f64 v[11:12], v[11:12], v[13:14], v[11:12]
	v_mul_f64 v[13:14], v[15:16], v[11:12]
	v_fma_f64 v[6:7], -v[6:7], v[13:14], v[15:16]
	v_div_fmas_f64 v[6:7], v[6:7], v[11:12], v[13:14]
	v_div_fixup_f64 v[4:5], v[6:7], v[2:3], v[4:5]
	v_fma_f64 v[4:5], v[4:5], v[4:5], 1.0
	v_cmp_gt_f64_e32 vcc_lo, 0x10000000, v[4:5]
	v_cndmask_b32_e64 v6, 0, 0x100, vcc_lo
	v_ldexp_f64 v[4:5], v[4:5], v6
	v_rsq_f64_e32 v[6:7], v[4:5]
	v_mul_f64 v[11:12], v[4:5], v[6:7]
	v_mul_f64 v[6:7], v[6:7], 0.5
	v_fma_f64 v[13:14], -v[6:7], v[11:12], 0.5
	v_fma_f64 v[11:12], v[11:12], v[13:14], v[11:12]
	v_fma_f64 v[6:7], v[6:7], v[13:14], v[6:7]
	v_fma_f64 v[13:14], -v[11:12], v[11:12], v[4:5]
	v_fma_f64 v[11:12], v[13:14], v[6:7], v[11:12]
	v_fma_f64 v[13:14], -v[11:12], v[11:12], v[4:5]
	v_fma_f64 v[6:7], v[13:14], v[6:7], v[11:12]
	v_cndmask_b32_e64 v11, 0, 0xffffff80, vcc_lo
	v_cmp_class_f64_e64 vcc_lo, v[4:5], 0x260
	v_ldexp_f64 v[6:7], v[6:7], v11
	v_cndmask_b32_e32 v5, v7, v5, vcc_lo
	v_cndmask_b32_e32 v4, v6, v4, vcc_lo
	v_mul_f64 v[6:7], v[2:3], v[4:5]
.LBB39_48:
	s_or_b32 exec_lo, exec_lo, s1
	v_cmp_gt_f64_e32 vcc_lo, 0x10000000, v[6:7]
	v_cmp_eq_f64_e64 s1, 0, v[6:7]
	v_cndmask_b32_e64 v2, 0, 0x100, vcc_lo
	v_ldexp_f64 v[2:3], v[6:7], v2
	v_rsq_f64_e32 v[4:5], v[2:3]
	v_mul_f64 v[11:12], v[2:3], v[4:5]
	v_mul_f64 v[4:5], v[4:5], 0.5
	v_fma_f64 v[13:14], -v[4:5], v[11:12], 0.5
	v_fma_f64 v[11:12], v[11:12], v[13:14], v[11:12]
	v_fma_f64 v[4:5], v[4:5], v[13:14], v[4:5]
	v_fma_f64 v[13:14], -v[11:12], v[11:12], v[2:3]
	v_fma_f64 v[11:12], v[13:14], v[4:5], v[11:12]
	v_fma_f64 v[13:14], -v[11:12], v[11:12], v[2:3]
	v_fma_f64 v[4:5], v[13:14], v[4:5], v[11:12]
	v_cndmask_b32_e64 v11, 0, 0xffffff80, vcc_lo
	v_cmp_class_f64_e64 vcc_lo, v[2:3], 0x260
	v_ldexp_f64 v[11:12], v[4:5], v11
	v_mov_b32_e32 v4, 0
	v_mov_b32_e32 v5, v4
	v_cndmask_b32_e32 v3, v12, v3, vcc_lo
	v_cndmask_b32_e32 v2, v11, v2, vcc_lo
	global_store_dwordx4 v[0:1], v[2:5], off
	s_and_b32 exec_lo, exec_lo, s1
	s_cbranch_execz .LBB39_53
; %bb.49:
	v_add_nc_u32_e32 v0, s3, v10
	s_mov_b32 s2, exec_lo
	s_brev_b32 s1, -2
.LBB39_50:                              ; =>This Inner Loop Header: Depth=1
	s_ff1_i32_b32 s3, s2
	v_readlane_b32 s5, v0, s3
	s_lshl_b32 s3, 1, s3
	s_andn2_b32 s2, s2, s3
	s_min_i32 s1, s1, s5
	s_cmp_lg_u32 s2, 0
	s_cbranch_scc1 .LBB39_50
; %bb.51:
	v_mbcnt_lo_u32_b32 v0, exec_lo, 0
	s_mov_b32 s2, exec_lo
	v_cmpx_eq_u32_e32 0, v0
	s_xor_b32 s2, exec_lo, s2
	s_cbranch_execz .LBB39_53
; %bb.52:
	v_mov_b32_e32 v0, 0
	v_mov_b32_e32 v1, s1
	global_atomic_smin v0, v1, s[16:17]
.LBB39_53:
	s_or_b32 exec_lo, exec_lo, s4
	s_and_b32 exec_lo, exec_lo, s0
	s_cbranch_execz .LBB39_55
; %bb.54:
	v_add_co_u32 v0, vcc_lo, s12, v8
	v_add_co_ci_u32_e64 v1, null, s13, v9, vcc_lo
	v_mov_b32_e32 v2, 1
	s_waitcnt lgkmcnt(0)
	s_waitcnt_vscnt null, 0x0
	global_store_dword v[0:1], v2, off
.LBB39_55:
	s_endpgm
	.section	.rodata,"a",@progbits
	.p2align	6, 0x0
	.amdhsa_kernel _ZN9rocsparseL23csric0_binsearch_kernelILj256ELj64ELb1E21rocsparse_complex_numIdEEEviPKiS4_PT2_S4_PiS4_S7_S7_d21rocsparse_index_base_
		.amdhsa_group_segment_fixed_size 0
		.amdhsa_private_segment_fixed_size 0
		.amdhsa_kernarg_size 84
		.amdhsa_user_sgpr_count 6
		.amdhsa_user_sgpr_private_segment_buffer 1
		.amdhsa_user_sgpr_dispatch_ptr 0
		.amdhsa_user_sgpr_queue_ptr 0
		.amdhsa_user_sgpr_kernarg_segment_ptr 1
		.amdhsa_user_sgpr_dispatch_id 0
		.amdhsa_user_sgpr_flat_scratch_init 0
		.amdhsa_user_sgpr_private_segment_size 0
		.amdhsa_wavefront_size32 1
		.amdhsa_uses_dynamic_stack 0
		.amdhsa_system_sgpr_private_segment_wavefront_offset 0
		.amdhsa_system_sgpr_workgroup_id_x 1
		.amdhsa_system_sgpr_workgroup_id_y 0
		.amdhsa_system_sgpr_workgroup_id_z 0
		.amdhsa_system_sgpr_workgroup_info 0
		.amdhsa_system_vgpr_workitem_id 0
		.amdhsa_next_free_vgpr 45
		.amdhsa_next_free_sgpr 28
		.amdhsa_reserve_vcc 1
		.amdhsa_reserve_flat_scratch 0
		.amdhsa_float_round_mode_32 0
		.amdhsa_float_round_mode_16_64 0
		.amdhsa_float_denorm_mode_32 3
		.amdhsa_float_denorm_mode_16_64 3
		.amdhsa_dx10_clamp 1
		.amdhsa_ieee_mode 1
		.amdhsa_fp16_overflow 0
		.amdhsa_workgroup_processor_mode 1
		.amdhsa_memory_ordered 1
		.amdhsa_forward_progress 1
		.amdhsa_shared_vgpr_count 0
		.amdhsa_exception_fp_ieee_invalid_op 0
		.amdhsa_exception_fp_denorm_src 0
		.amdhsa_exception_fp_ieee_div_zero 0
		.amdhsa_exception_fp_ieee_overflow 0
		.amdhsa_exception_fp_ieee_underflow 0
		.amdhsa_exception_fp_ieee_inexact 0
		.amdhsa_exception_int_div_zero 0
	.end_amdhsa_kernel
	.section	.text._ZN9rocsparseL23csric0_binsearch_kernelILj256ELj64ELb1E21rocsparse_complex_numIdEEEviPKiS4_PT2_S4_PiS4_S7_S7_d21rocsparse_index_base_,"axG",@progbits,_ZN9rocsparseL23csric0_binsearch_kernelILj256ELj64ELb1E21rocsparse_complex_numIdEEEviPKiS4_PT2_S4_PiS4_S7_S7_d21rocsparse_index_base_,comdat
.Lfunc_end39:
	.size	_ZN9rocsparseL23csric0_binsearch_kernelILj256ELj64ELb1E21rocsparse_complex_numIdEEEviPKiS4_PT2_S4_PiS4_S7_S7_d21rocsparse_index_base_, .Lfunc_end39-_ZN9rocsparseL23csric0_binsearch_kernelILj256ELj64ELb1E21rocsparse_complex_numIdEEEviPKiS4_PT2_S4_PiS4_S7_S7_d21rocsparse_index_base_
                                        ; -- End function
	.set _ZN9rocsparseL23csric0_binsearch_kernelILj256ELj64ELb1E21rocsparse_complex_numIdEEEviPKiS4_PT2_S4_PiS4_S7_S7_d21rocsparse_index_base_.num_vgpr, 45
	.set _ZN9rocsparseL23csric0_binsearch_kernelILj256ELj64ELb1E21rocsparse_complex_numIdEEEviPKiS4_PT2_S4_PiS4_S7_S7_d21rocsparse_index_base_.num_agpr, 0
	.set _ZN9rocsparseL23csric0_binsearch_kernelILj256ELj64ELb1E21rocsparse_complex_numIdEEEviPKiS4_PT2_S4_PiS4_S7_S7_d21rocsparse_index_base_.numbered_sgpr, 28
	.set _ZN9rocsparseL23csric0_binsearch_kernelILj256ELj64ELb1E21rocsparse_complex_numIdEEEviPKiS4_PT2_S4_PiS4_S7_S7_d21rocsparse_index_base_.num_named_barrier, 0
	.set _ZN9rocsparseL23csric0_binsearch_kernelILj256ELj64ELb1E21rocsparse_complex_numIdEEEviPKiS4_PT2_S4_PiS4_S7_S7_d21rocsparse_index_base_.private_seg_size, 0
	.set _ZN9rocsparseL23csric0_binsearch_kernelILj256ELj64ELb1E21rocsparse_complex_numIdEEEviPKiS4_PT2_S4_PiS4_S7_S7_d21rocsparse_index_base_.uses_vcc, 1
	.set _ZN9rocsparseL23csric0_binsearch_kernelILj256ELj64ELb1E21rocsparse_complex_numIdEEEviPKiS4_PT2_S4_PiS4_S7_S7_d21rocsparse_index_base_.uses_flat_scratch, 0
	.set _ZN9rocsparseL23csric0_binsearch_kernelILj256ELj64ELb1E21rocsparse_complex_numIdEEEviPKiS4_PT2_S4_PiS4_S7_S7_d21rocsparse_index_base_.has_dyn_sized_stack, 0
	.set _ZN9rocsparseL23csric0_binsearch_kernelILj256ELj64ELb1E21rocsparse_complex_numIdEEEviPKiS4_PT2_S4_PiS4_S7_S7_d21rocsparse_index_base_.has_recursion, 0
	.set _ZN9rocsparseL23csric0_binsearch_kernelILj256ELj64ELb1E21rocsparse_complex_numIdEEEviPKiS4_PT2_S4_PiS4_S7_S7_d21rocsparse_index_base_.has_indirect_call, 0
	.section	.AMDGPU.csdata,"",@progbits
; Kernel info:
; codeLenInByte = 3184
; TotalNumSgprs: 30
; NumVgprs: 45
; ScratchSize: 0
; MemoryBound: 1
; FloatMode: 240
; IeeeMode: 1
; LDSByteSize: 0 bytes/workgroup (compile time only)
; SGPRBlocks: 0
; VGPRBlocks: 5
; NumSGPRsForWavesPerEU: 30
; NumVGPRsForWavesPerEU: 45
; Occupancy: 16
; WaveLimiterHint : 1
; COMPUTE_PGM_RSRC2:SCRATCH_EN: 0
; COMPUTE_PGM_RSRC2:USER_SGPR: 6
; COMPUTE_PGM_RSRC2:TRAP_HANDLER: 0
; COMPUTE_PGM_RSRC2:TGID_X_EN: 1
; COMPUTE_PGM_RSRC2:TGID_Y_EN: 0
; COMPUTE_PGM_RSRC2:TGID_Z_EN: 0
; COMPUTE_PGM_RSRC2:TIDIG_COMP_CNT: 0
	.section	.text._ZN9rocsparseL18csric0_hash_kernelILj256ELj32ELj1E21rocsparse_complex_numIdEEEviPKiS4_PT2_S4_PiS4_S7_S7_d21rocsparse_index_base_,"axG",@progbits,_ZN9rocsparseL18csric0_hash_kernelILj256ELj32ELj1E21rocsparse_complex_numIdEEEviPKiS4_PT2_S4_PiS4_S7_S7_d21rocsparse_index_base_,comdat
	.globl	_ZN9rocsparseL18csric0_hash_kernelILj256ELj32ELj1E21rocsparse_complex_numIdEEEviPKiS4_PT2_S4_PiS4_S7_S7_d21rocsparse_index_base_ ; -- Begin function _ZN9rocsparseL18csric0_hash_kernelILj256ELj32ELj1E21rocsparse_complex_numIdEEEviPKiS4_PT2_S4_PiS4_S7_S7_d21rocsparse_index_base_
	.p2align	8
	.type	_ZN9rocsparseL18csric0_hash_kernelILj256ELj32ELj1E21rocsparse_complex_numIdEEEviPKiS4_PT2_S4_PiS4_S7_S7_d21rocsparse_index_base_,@function
_ZN9rocsparseL18csric0_hash_kernelILj256ELj32ELj1E21rocsparse_complex_numIdEEEviPKiS4_PT2_S4_PiS4_S7_S7_d21rocsparse_index_base_: ; @_ZN9rocsparseL18csric0_hash_kernelILj256ELj32ELj1E21rocsparse_complex_numIdEEEviPKiS4_PT2_S4_PiS4_S7_S7_d21rocsparse_index_base_
; %bb.0:
	s_load_dword s0, s[4:5], 0x0
	v_and_b32_e32 v1, 0xe0, v0
	v_lshrrev_b32_e32 v2, 5, v0
	s_lshl_b32 s1, s6, 3
	v_and_b32_e32 v28, 31, v0
	v_mov_b32_e32 v3, -1
	v_lshl_or_b32 v29, v1, 2, 0x400
	v_and_or_b32 v0, 0x7fffff8, s1, v2
	v_lshl_or_b32 v2, v28, 2, v29
	ds_write_b32 v2, v3
	s_waitcnt lgkmcnt(0)
	buffer_gl0_inv
	v_cmp_gt_i32_e32 vcc_lo, s0, v0
	s_and_saveexec_b32 s0, vcc_lo
	s_cbranch_execz .LBB40_52
; %bb.1:
	s_load_dwordx8 s[8:15], s[4:5], 0x28
	v_lshlrev_b32_e32 v0, 2, v0
	s_clause 0x1
	s_load_dwordx8 s[16:23], s[4:5], 0x8
	s_load_dword s2, s[4:5], 0x50
	v_lshlrev_b32_e32 v30, 2, v1
	s_mov_b32 s0, exec_lo
	s_waitcnt lgkmcnt(0)
	global_load_dword v10, v0, s[10:11]
	s_waitcnt vmcnt(0)
	v_ashrrev_i32_e32 v11, 31, v10
	v_lshlrev_b64 v[8:9], 2, v[10:11]
	v_add_co_u32 v2, vcc_lo, s16, v8
	v_add_co_ci_u32_e64 v3, null, s17, v9, vcc_lo
	v_add_co_u32 v4, vcc_lo, s22, v8
	v_add_co_ci_u32_e64 v5, null, s23, v9, vcc_lo
	global_load_dwordx2 v[2:3], v[2:3], off
	global_load_dword v11, v[4:5], off
	s_waitcnt vmcnt(1)
	v_subrev_nc_u32_e32 v12, s2, v2
	v_subrev_nc_u32_e32 v2, s2, v3
	v_add_nc_u32_e32 v0, v12, v28
	v_cmpx_lt_i32_e64 v0, v2
	s_cbranch_execz .LBB40_11
; %bb.2:
	v_mov_b32_e32 v3, -1
	s_mov_b32 s1, 0
	s_branch .LBB40_4
.LBB40_3:                               ;   in Loop: Header=BB40_4 Depth=1
	s_or_b32 exec_lo, exec_lo, s3
	v_add_nc_u32_e32 v0, 32, v0
	v_cmp_ge_i32_e32 vcc_lo, v0, v2
	s_or_b32 s1, vcc_lo, s1
	s_andn2_b32 exec_lo, exec_lo, s1
	s_cbranch_execz .LBB40_11
.LBB40_4:                               ; =>This Loop Header: Depth=1
                                        ;     Child Loop BB40_7 Depth 2
	v_ashrrev_i32_e32 v1, 31, v0
	s_mov_b32 s3, exec_lo
	v_lshlrev_b64 v[4:5], 2, v[0:1]
	v_add_co_u32 v4, vcc_lo, s18, v4
	v_add_co_ci_u32_e64 v5, null, s19, v5, vcc_lo
	global_load_dword v1, v[4:5], off
	s_waitcnt vmcnt(0)
	v_mul_lo_u32 v4, v1, 7
	v_and_b32_e32 v4, 31, v4
	v_lshl_add_u32 v5, v4, 2, v29
	ds_read_b32 v6, v5
	s_waitcnt lgkmcnt(0)
	v_cmpx_ne_u32_e64 v6, v1
	s_cbranch_execz .LBB40_3
; %bb.5:                                ;   in Loop: Header=BB40_4 Depth=1
	s_mov_b32 s6, 0
                                        ; implicit-def: $sgpr7
                                        ; implicit-def: $sgpr11
                                        ; implicit-def: $sgpr10
	s_inst_prefetch 0x1
	s_branch .LBB40_7
	.p2align	6
.LBB40_6:                               ;   in Loop: Header=BB40_7 Depth=2
	s_or_b32 exec_lo, exec_lo, s24
	s_and_b32 s24, exec_lo, s11
	s_or_b32 s6, s24, s6
	s_andn2_b32 s7, s7, exec_lo
	s_and_b32 s24, s10, exec_lo
	s_or_b32 s7, s7, s24
	s_andn2_b32 exec_lo, exec_lo, s6
	s_cbranch_execz .LBB40_9
.LBB40_7:                               ;   Parent Loop BB40_4 Depth=1
                                        ; =>  This Inner Loop Header: Depth=2
	ds_cmpst_rtn_b32 v5, v5, v3, v1
	v_mov_b32_e32 v6, v4
	s_or_b32 s10, s10, exec_lo
	s_or_b32 s11, s11, exec_lo
                                        ; implicit-def: $vgpr4
	s_waitcnt lgkmcnt(0)
	v_cmp_ne_u32_e32 vcc_lo, -1, v5
                                        ; implicit-def: $vgpr5
	s_and_saveexec_b32 s24, vcc_lo
	s_cbranch_execz .LBB40_6
; %bb.8:                                ;   in Loop: Header=BB40_7 Depth=2
	v_add_nc_u32_e32 v4, 1, v6
	s_andn2_b32 s11, s11, exec_lo
	s_andn2_b32 s10, s10, exec_lo
	v_and_b32_e32 v4, 31, v4
	v_lshl_add_u32 v5, v4, 2, v29
	ds_read_b32 v7, v5
	s_waitcnt lgkmcnt(0)
	v_cmp_eq_u32_e32 vcc_lo, v7, v1
	s_and_b32 s25, vcc_lo, exec_lo
	s_or_b32 s11, s11, s25
	s_branch .LBB40_6
.LBB40_9:                               ;   in Loop: Header=BB40_4 Depth=1
	s_inst_prefetch 0x2
	s_or_b32 exec_lo, exec_lo, s6
	s_and_saveexec_b32 s6, s7
	s_xor_b32 s6, exec_lo, s6
	s_cbranch_execz .LBB40_3
; %bb.10:                               ;   in Loop: Header=BB40_4 Depth=1
	v_lshl_add_u32 v1, v6, 2, v30
	ds_write_b32 v1, v0
	s_branch .LBB40_3
.LBB40_11:
	s_or_b32 exec_lo, exec_lo, s0
	v_mov_b32_e32 v14, 0
	v_mov_b32_e32 v16, 0
	;; [unrolled: 1-line block ×4, first 2 shown]
	s_mov_b32 s3, exec_lo
	s_waitcnt vmcnt(0) lgkmcnt(0)
	buffer_gl0_inv
	v_cmpx_lt_i32_e64 v12, v11
	s_cbranch_execz .LBB40_33
; %bb.12:
	v_mov_b32_e32 v14, 0
	v_mov_b32_e32 v16, 0
	v_add_nc_u32_e32 v31, -1, v11
	v_subrev_nc_u32_e32 v32, s2, v28
	v_cmp_eq_u32_e64 s0, 31, v28
	v_mov_b32_e32 v15, 0
	v_mov_b32_e32 v17, 0
	v_mbcnt_lo_u32_b32 v33, -1, 0
	s_mov_b32 s6, 0
	s_branch .LBB40_15
.LBB40_13:                              ;   in Loop: Header=BB40_15 Depth=1
	s_or_b32 exec_lo, exec_lo, s7
	v_add_nc_u32_e32 v12, 1, v12
	v_cmp_ge_i32_e32 vcc_lo, v12, v11
	s_orn2_b32 s7, vcc_lo, exec_lo
.LBB40_14:                              ;   in Loop: Header=BB40_15 Depth=1
	s_or_b32 exec_lo, exec_lo, s1
	s_and_b32 s1, exec_lo, s7
	s_or_b32 s6, s1, s6
	s_andn2_b32 exec_lo, exec_lo, s6
	s_cbranch_execz .LBB40_32
.LBB40_15:                              ; =>This Loop Header: Depth=1
                                        ;     Child Loop BB40_16 Depth 2
                                        ;     Child Loop BB40_22 Depth 2
                                        ;       Child Loop BB40_25 Depth 3
	v_ashrrev_i32_e32 v13, 31, v12
	s_mov_b32 s1, 0
	v_lshlrev_b64 v[0:1], 2, v[12:13]
	v_lshlrev_b64 v[2:3], 4, v[12:13]
	v_add_co_u32 v0, vcc_lo, s18, v0
	v_add_co_ci_u32_e64 v1, null, s19, v1, vcc_lo
	v_add_co_u32 v18, vcc_lo, s20, v2
	v_add_co_ci_u32_e64 v19, null, s21, v3, vcc_lo
	global_load_dword v0, v[0:1], off
	s_waitcnt vmcnt(0)
	v_subrev_nc_u32_e32 v0, s2, v0
	v_ashrrev_i32_e32 v1, 31, v0
	v_lshlrev_b64 v[4:5], 2, v[0:1]
	v_add_co_u32 v6, vcc_lo, s16, v4
	v_add_co_ci_u32_e64 v7, null, s17, v5, vcc_lo
	v_add_co_u32 v20, vcc_lo, s22, v4
	v_add_co_ci_u32_e64 v21, null, s23, v5, vcc_lo
	global_load_dwordx4 v[0:3], v[18:19], off
	global_load_dword v13, v[6:7], off
	global_load_dword v6, v[20:21], off
	v_add_co_u32 v4, vcc_lo, s8, v4
	v_add_co_ci_u32_e64 v5, null, s9, v5, vcc_lo
.LBB40_16:                              ;   Parent Loop BB40_15 Depth=1
                                        ; =>  This Inner Loop Header: Depth=2
	global_load_dword v7, v[4:5], off glc dlc
	s_waitcnt vmcnt(0)
	v_cmp_ne_u32_e32 vcc_lo, 0, v7
	s_or_b32 s1, vcc_lo, s1
	s_andn2_b32 exec_lo, exec_lo, s1
	s_cbranch_execnz .LBB40_16
; %bb.17:                               ;   in Loop: Header=BB40_15 Depth=1
	s_or_b32 exec_lo, exec_lo, s1
	v_cmp_eq_u32_e32 vcc_lo, -1, v6
	buffer_gl1_inv
	buffer_gl0_inv
	s_mov_b32 s7, -1
	s_waitcnt lgkmcnt(3)
	v_cndmask_b32_e32 v24, v6, v31, vcc_lo
	s_waitcnt lgkmcnt(2)
	v_ashrrev_i32_e32 v25, 31, v24
	v_lshlrev_b64 v[4:5], 4, v[24:25]
	v_add_co_u32 v4, vcc_lo, s20, v4
	v_add_co_ci_u32_e64 v5, null, s21, v5, vcc_lo
	global_load_dwordx4 v[4:7], v[4:5], off
	s_waitcnt vmcnt(0)
	v_cmp_neq_f64_e32 vcc_lo, 0, v[4:5]
	v_cmp_neq_f64_e64 s1, 0, v[6:7]
	s_or_b32 s10, vcc_lo, s1
	s_and_saveexec_b32 s1, s10
	s_cbranch_execz .LBB40_14
; %bb.18:                               ;   in Loop: Header=BB40_15 Depth=1
	v_mov_b32_e32 v20, 0
	v_mov_b32_e32 v22, 0
	v_add_nc_u32_e32 v25, v32, v13
	v_mov_b32_e32 v21, 0
	v_mov_b32_e32 v23, 0
	s_mov_b32 s7, exec_lo
	v_cmpx_lt_i32_e64 v25, v24
	s_cbranch_execz .LBB40_30
; %bb.19:                               ;   in Loop: Header=BB40_15 Depth=1
	v_mov_b32_e32 v20, 0
	v_mov_b32_e32 v22, 0
	;; [unrolled: 1-line block ×4, first 2 shown]
	s_mov_b32 s10, 0
	s_branch .LBB40_22
.LBB40_20:                              ;   in Loop: Header=BB40_22 Depth=2
	s_or_b32 exec_lo, exec_lo, s24
.LBB40_21:                              ;   in Loop: Header=BB40_22 Depth=2
	s_or_b32 exec_lo, exec_lo, s11
	v_add_nc_u32_e32 v25, 32, v25
	v_cmp_ge_i32_e32 vcc_lo, v25, v24
	s_or_b32 s10, vcc_lo, s10
	s_andn2_b32 exec_lo, exec_lo, s10
	s_cbranch_execz .LBB40_29
.LBB40_22:                              ;   Parent Loop BB40_15 Depth=1
                                        ; =>  This Loop Header: Depth=2
                                        ;       Child Loop BB40_25 Depth 3
	s_waitcnt lgkmcnt(1)
	v_ashrrev_i32_e32 v26, 31, v25
	s_mov_b32 s11, exec_lo
	v_lshlrev_b64 v[34:35], 2, v[25:26]
	v_add_co_u32 v34, vcc_lo, s18, v34
	v_add_co_ci_u32_e64 v35, null, s19, v35, vcc_lo
	global_load_dword v13, v[34:35], off
	s_waitcnt vmcnt(0) lgkmcnt(0)
	v_mul_lo_u32 v27, v13, 7
	v_and_b32_e32 v35, 31, v27
	v_lshl_add_u32 v27, v35, 2, v29
	ds_read_b32 v34, v27
	s_waitcnt lgkmcnt(0)
	v_cmpx_ne_u32_e32 -1, v34
	s_cbranch_execz .LBB40_21
; %bb.23:                               ;   in Loop: Header=BB40_22 Depth=2
	s_mov_b32 s25, 0
                                        ; implicit-def: $sgpr24
                                        ; implicit-def: $sgpr27
                                        ; implicit-def: $sgpr26
	s_inst_prefetch 0x1
	s_branch .LBB40_25
	.p2align	6
.LBB40_24:                              ;   in Loop: Header=BB40_25 Depth=3
	s_or_b32 exec_lo, exec_lo, s28
	s_and_b32 s28, exec_lo, s27
	s_or_b32 s25, s28, s25
	s_andn2_b32 s24, s24, exec_lo
	s_and_b32 s28, s26, exec_lo
	s_or_b32 s24, s24, s28
	s_andn2_b32 exec_lo, exec_lo, s25
	s_cbranch_execz .LBB40_27
.LBB40_25:                              ;   Parent Loop BB40_15 Depth=1
                                        ;     Parent Loop BB40_22 Depth=2
                                        ; =>    This Inner Loop Header: Depth=3
	v_mov_b32_e32 v27, v35
	v_cmp_ne_u32_e32 vcc_lo, v34, v13
	s_or_b32 s26, s26, exec_lo
	s_or_b32 s27, s27, exec_lo
                                        ; implicit-def: $vgpr35
                                        ; implicit-def: $vgpr34
	s_and_saveexec_b32 s28, vcc_lo
	s_cbranch_execz .LBB40_24
; %bb.26:                               ;   in Loop: Header=BB40_25 Depth=3
	v_add_nc_u32_e32 v34, 1, v27
	s_andn2_b32 s27, s27, exec_lo
	s_andn2_b32 s26, s26, exec_lo
	v_and_b32_e32 v35, 31, v34
	v_lshl_add_u32 v34, v35, 2, v29
	ds_read_b32 v34, v34
	s_waitcnt lgkmcnt(0)
	v_cmp_eq_u32_e32 vcc_lo, -1, v34
	s_and_b32 s29, vcc_lo, exec_lo
	s_or_b32 s27, s27, s29
	s_branch .LBB40_24
.LBB40_27:                              ;   in Loop: Header=BB40_22 Depth=2
	s_inst_prefetch 0x2
	s_or_b32 exec_lo, exec_lo, s25
	s_and_saveexec_b32 s25, s24
	s_xor_b32 s24, exec_lo, s25
	s_cbranch_execz .LBB40_20
; %bb.28:                               ;   in Loop: Header=BB40_22 Depth=2
	v_lshl_add_u32 v13, v27, 2, v30
	v_lshlrev_b64 v[26:27], 4, v[25:26]
	ds_read_b32 v34, v13
	v_add_co_u32 v26, vcc_lo, s20, v26
	v_add_co_ci_u32_e64 v27, null, s21, v27, vcc_lo
	s_waitcnt lgkmcnt(0)
	v_ashrrev_i32_e32 v35, 31, v34
	v_lshlrev_b64 v[34:35], 4, v[34:35]
	v_add_co_u32 v38, vcc_lo, s20, v34
	v_add_co_ci_u32_e64 v39, null, s21, v35, vcc_lo
	s_clause 0x1
	global_load_dwordx4 v[34:37], v[26:27], off
	global_load_dwordx4 v[38:41], v[38:39], off
	s_waitcnt vmcnt(0)
	v_fma_f64 v[22:23], v[34:35], v[38:39], v[22:23]
	v_fma_f64 v[20:21], v[36:37], v[38:39], v[20:21]
	;; [unrolled: 1-line block ×3, first 2 shown]
	v_fma_f64 v[20:21], v[34:35], -v[40:41], v[20:21]
	s_branch .LBB40_20
.LBB40_29:                              ;   in Loop: Header=BB40_15 Depth=1
	s_or_b32 exec_lo, exec_lo, s10
.LBB40_30:                              ;   in Loop: Header=BB40_15 Depth=1
	s_or_b32 exec_lo, exec_lo, s7
	v_xor_b32_e32 v13, 16, v33
	v_cmp_gt_i32_e32 vcc_lo, 32, v13
	v_cndmask_b32_e32 v13, v33, v13, vcc_lo
	v_lshlrev_b32_e32 v13, 2, v13
	ds_bpermute_b32 v24, v13, v22
	ds_bpermute_b32 v25, v13, v23
	s_waitcnt lgkmcnt(3)
	ds_bpermute_b32 v26, v13, v20
	s_waitcnt lgkmcnt(3)
	ds_bpermute_b32 v27, v13, v21
	v_xor_b32_e32 v13, 8, v33
	v_cmp_gt_i32_e32 vcc_lo, 32, v13
	v_cndmask_b32_e32 v13, v33, v13, vcc_lo
	v_lshlrev_b32_e32 v13, 2, v13
	s_waitcnt lgkmcnt(2)
	v_add_f64 v[22:23], v[22:23], v[24:25]
	s_waitcnt lgkmcnt(0)
	v_add_f64 v[20:21], v[20:21], v[26:27]
	ds_bpermute_b32 v24, v13, v22
	ds_bpermute_b32 v25, v13, v23
	ds_bpermute_b32 v26, v13, v20
	ds_bpermute_b32 v27, v13, v21
	v_xor_b32_e32 v13, 4, v33
	v_cmp_gt_i32_e32 vcc_lo, 32, v13
	v_cndmask_b32_e32 v13, v33, v13, vcc_lo
	v_lshlrev_b32_e32 v13, 2, v13
	s_waitcnt lgkmcnt(2)
	v_add_f64 v[22:23], v[22:23], v[24:25]
	s_waitcnt lgkmcnt(0)
	v_add_f64 v[20:21], v[20:21], v[26:27]
	ds_bpermute_b32 v24, v13, v22
	ds_bpermute_b32 v25, v13, v23
	ds_bpermute_b32 v26, v13, v20
	;; [unrolled: 12-line block ×4, first 2 shown]
	ds_bpermute_b32 v27, v13, v23
	s_and_saveexec_b32 s7, s0
	s_cbranch_execz .LBB40_13
; %bb.31:                               ;   in Loop: Header=BB40_15 Depth=1
	v_mul_f64 v[34:35], v[6:7], v[6:7]
	s_waitcnt lgkmcnt(0)
	v_add_f64 v[22:23], v[22:23], v[26:27]
	v_add_f64 v[20:21], v[20:21], v[24:25]
	v_fma_f64 v[34:35], v[4:5], v[4:5], v[34:35]
	v_add_f64 v[2:3], v[2:3], -v[22:23]
	v_add_f64 v[0:1], v[0:1], -v[20:21]
	v_div_scale_f64 v[36:37], null, v[34:35], v[34:35], 1.0
	v_div_scale_f64 v[42:43], vcc_lo, 1.0, v[34:35], 1.0
	v_rcp_f64_e32 v[38:39], v[36:37]
	v_fma_f64 v[40:41], -v[36:37], v[38:39], 1.0
	v_fma_f64 v[38:39], v[38:39], v[40:41], v[38:39]
	v_fma_f64 v[40:41], -v[36:37], v[38:39], 1.0
	v_fma_f64 v[38:39], v[38:39], v[40:41], v[38:39]
	v_mul_f64 v[40:41], v[42:43], v[38:39]
	v_fma_f64 v[36:37], -v[36:37], v[40:41], v[42:43]
	v_div_fmas_f64 v[36:37], v[36:37], v[38:39], v[40:41]
	v_fma_f64 v[38:39], v[4:5], 0, -v[6:7]
	v_fma_f64 v[4:5], v[6:7], 0, v[4:5]
	v_div_fixup_f64 v[26:27], v[36:37], v[34:35], 1.0
	v_mul_f64 v[6:7], v[38:39], v[26:27]
	v_mul_f64 v[4:5], v[4:5], v[26:27]
	v_mul_f64 v[20:21], v[6:7], -v[2:3]
	v_mul_f64 v[6:7], v[6:7], v[0:1]
	v_fma_f64 v[0:1], v[0:1], v[4:5], v[20:21]
	v_fma_f64 v[2:3], v[2:3], v[4:5], v[6:7]
	;; [unrolled: 1-line block ×4, first 2 shown]
	global_store_dwordx4 v[18:19], v[0:3], off
	v_fma_f64 v[16:17], v[2:3], v[2:3], v[4:5]
	v_fma_f64 v[14:15], v[0:1], -v[2:3], v[6:7]
	s_branch .LBB40_13
.LBB40_32:
	s_or_b32 exec_lo, exec_lo, s6
.LBB40_33:
	s_or_b32 exec_lo, exec_lo, s3
	v_cmp_eq_u32_e64 s0, 31, v28
	v_cmp_lt_i32_e32 vcc_lo, -1, v11
	s_and_b32 s1, s0, vcc_lo
	s_and_saveexec_b32 s3, s1
	s_cbranch_execz .LBB40_50
; %bb.34:
	v_mov_b32_e32 v12, 0
	s_load_dwordx2 s[4:5], s[4:5], 0x48
	v_lshlrev_b64 v[0:1], 4, v[11:12]
	v_add_co_u32 v0, vcc_lo, s20, v0
	v_add_co_ci_u32_e64 v1, null, s21, v1, vcc_lo
	global_load_dwordx4 v[2:5], v[0:1], off
	s_waitcnt lgkmcnt(0)
	v_mul_f64 v[11:12], s[4:5], s[4:5]
	s_waitcnt vmcnt(0)
	v_add_f64 v[2:3], v[2:3], -v[16:17]
	v_add_f64 v[6:7], v[4:5], -v[14:15]
	v_cmp_le_f64_e32 vcc_lo, v[2:3], v[11:12]
	v_cmp_eq_f64_e64 s1, 0, v[6:7]
	v_add_nc_u32_e32 v12, s2, v10
	s_and_b32 s2, vcc_lo, s1
	s_and_saveexec_b32 s1, s2
	s_cbranch_execz .LBB40_39
; %bb.35:
	s_mov_b32 s4, exec_lo
	s_brev_b32 s2, -2
.LBB40_36:                              ; =>This Inner Loop Header: Depth=1
	s_ff1_i32_b32 s5, s4
	v_readlane_b32 s6, v12, s5
	s_lshl_b32 s5, 1, s5
	s_andn2_b32 s4, s4, s5
	s_min_i32 s2, s2, s6
	s_cmp_lg_u32 s4, 0
	s_cbranch_scc1 .LBB40_36
; %bb.37:
	v_mbcnt_lo_u32_b32 v4, exec_lo, 0
	s_mov_b32 s4, exec_lo
	v_cmpx_eq_u32_e32 0, v4
	s_xor_b32 s4, exec_lo, s4
	s_cbranch_execz .LBB40_39
; %bb.38:
	v_mov_b32_e32 v4, 0
	v_mov_b32_e32 v5, s2
	global_atomic_smin v4, v5, s[14:15]
.LBB40_39:
	s_or_b32 exec_lo, exec_lo, s1
	v_cmp_gt_f64_e32 vcc_lo, 0, v[2:3]
	v_xor_b32_e32 v4, 0x80000000, v3
	v_xor_b32_e32 v5, 0x80000000, v7
	s_mov_b32 s1, exec_lo
                                        ; implicit-def: $vgpr10_vgpr11
	v_cndmask_b32_e32 v3, v3, v4, vcc_lo
	v_cmp_gt_f64_e32 vcc_lo, 0, v[6:7]
	v_mov_b32_e32 v4, v6
	v_cndmask_b32_e32 v5, v7, v5, vcc_lo
	v_cmpx_ngt_f64_e32 v[2:3], v[4:5]
	s_xor_b32 s1, exec_lo, s1
	s_cbranch_execz .LBB40_43
; %bb.40:
	v_mov_b32_e32 v10, 0
	v_mov_b32_e32 v11, 0
	s_mov_b32 s2, exec_lo
	v_cmpx_neq_f64_e32 0, v[6:7]
	s_cbranch_execz .LBB40_42
; %bb.41:
	v_div_scale_f64 v[6:7], null, v[4:5], v[4:5], v[2:3]
	v_div_scale_f64 v[15:16], vcc_lo, v[2:3], v[4:5], v[2:3]
	v_rcp_f64_e32 v[10:11], v[6:7]
	v_fma_f64 v[13:14], -v[6:7], v[10:11], 1.0
	v_fma_f64 v[10:11], v[10:11], v[13:14], v[10:11]
	v_fma_f64 v[13:14], -v[6:7], v[10:11], 1.0
	v_fma_f64 v[10:11], v[10:11], v[13:14], v[10:11]
	v_mul_f64 v[13:14], v[15:16], v[10:11]
	v_fma_f64 v[6:7], -v[6:7], v[13:14], v[15:16]
	v_div_fmas_f64 v[6:7], v[6:7], v[10:11], v[13:14]
	v_div_fixup_f64 v[2:3], v[6:7], v[4:5], v[2:3]
	v_fma_f64 v[2:3], v[2:3], v[2:3], 1.0
	v_cmp_gt_f64_e32 vcc_lo, 0x10000000, v[2:3]
	v_cndmask_b32_e64 v6, 0, 0x100, vcc_lo
	v_ldexp_f64 v[2:3], v[2:3], v6
	v_rsq_f64_e32 v[6:7], v[2:3]
	v_mul_f64 v[10:11], v[2:3], v[6:7]
	v_mul_f64 v[6:7], v[6:7], 0.5
	v_fma_f64 v[13:14], -v[6:7], v[10:11], 0.5
	v_fma_f64 v[10:11], v[10:11], v[13:14], v[10:11]
	v_fma_f64 v[6:7], v[6:7], v[13:14], v[6:7]
	v_fma_f64 v[13:14], -v[10:11], v[10:11], v[2:3]
	v_fma_f64 v[10:11], v[13:14], v[6:7], v[10:11]
	v_fma_f64 v[13:14], -v[10:11], v[10:11], v[2:3]
	v_fma_f64 v[6:7], v[13:14], v[6:7], v[10:11]
	v_cndmask_b32_e64 v10, 0, 0xffffff80, vcc_lo
	v_cmp_class_f64_e64 vcc_lo, v[2:3], 0x260
	v_ldexp_f64 v[6:7], v[6:7], v10
	v_cndmask_b32_e32 v3, v7, v3, vcc_lo
	v_cndmask_b32_e32 v2, v6, v2, vcc_lo
	v_mul_f64 v[10:11], v[4:5], v[2:3]
.LBB40_42:
	s_or_b32 exec_lo, exec_lo, s2
                                        ; implicit-def: $vgpr2_vgpr3
                                        ; implicit-def: $vgpr4_vgpr5
.LBB40_43:
	s_andn2_saveexec_b32 s1, s1
	s_cbranch_execz .LBB40_45
; %bb.44:
	v_div_scale_f64 v[6:7], null, v[2:3], v[2:3], v[4:5]
	v_div_scale_f64 v[15:16], vcc_lo, v[4:5], v[2:3], v[4:5]
	v_rcp_f64_e32 v[10:11], v[6:7]
	v_fma_f64 v[13:14], -v[6:7], v[10:11], 1.0
	v_fma_f64 v[10:11], v[10:11], v[13:14], v[10:11]
	v_fma_f64 v[13:14], -v[6:7], v[10:11], 1.0
	v_fma_f64 v[10:11], v[10:11], v[13:14], v[10:11]
	v_mul_f64 v[13:14], v[15:16], v[10:11]
	v_fma_f64 v[6:7], -v[6:7], v[13:14], v[15:16]
	v_div_fmas_f64 v[6:7], v[6:7], v[10:11], v[13:14]
	v_div_fixup_f64 v[4:5], v[6:7], v[2:3], v[4:5]
	v_fma_f64 v[4:5], v[4:5], v[4:5], 1.0
	v_cmp_gt_f64_e32 vcc_lo, 0x10000000, v[4:5]
	v_cndmask_b32_e64 v6, 0, 0x100, vcc_lo
	v_ldexp_f64 v[4:5], v[4:5], v6
	v_rsq_f64_e32 v[6:7], v[4:5]
	v_mul_f64 v[10:11], v[4:5], v[6:7]
	v_mul_f64 v[6:7], v[6:7], 0.5
	v_fma_f64 v[13:14], -v[6:7], v[10:11], 0.5
	v_fma_f64 v[10:11], v[10:11], v[13:14], v[10:11]
	v_fma_f64 v[6:7], v[6:7], v[13:14], v[6:7]
	v_fma_f64 v[13:14], -v[10:11], v[10:11], v[4:5]
	v_fma_f64 v[10:11], v[13:14], v[6:7], v[10:11]
	v_fma_f64 v[13:14], -v[10:11], v[10:11], v[4:5]
	v_fma_f64 v[6:7], v[13:14], v[6:7], v[10:11]
	v_cndmask_b32_e64 v10, 0, 0xffffff80, vcc_lo
	v_cmp_class_f64_e64 vcc_lo, v[4:5], 0x260
	v_ldexp_f64 v[6:7], v[6:7], v10
	v_cndmask_b32_e32 v5, v7, v5, vcc_lo
	v_cndmask_b32_e32 v4, v6, v4, vcc_lo
	v_mul_f64 v[10:11], v[2:3], v[4:5]
.LBB40_45:
	s_or_b32 exec_lo, exec_lo, s1
	v_cmp_gt_f64_e32 vcc_lo, 0x10000000, v[10:11]
	v_cmp_eq_f64_e64 s1, 0, v[10:11]
	v_cndmask_b32_e64 v2, 0, 0x100, vcc_lo
	v_ldexp_f64 v[2:3], v[10:11], v2
	v_rsq_f64_e32 v[4:5], v[2:3]
	v_mul_f64 v[6:7], v[2:3], v[4:5]
	v_mul_f64 v[4:5], v[4:5], 0.5
	v_fma_f64 v[13:14], -v[4:5], v[6:7], 0.5
	v_fma_f64 v[6:7], v[6:7], v[13:14], v[6:7]
	v_fma_f64 v[4:5], v[4:5], v[13:14], v[4:5]
	v_fma_f64 v[13:14], -v[6:7], v[6:7], v[2:3]
	v_fma_f64 v[6:7], v[13:14], v[4:5], v[6:7]
	v_fma_f64 v[13:14], -v[6:7], v[6:7], v[2:3]
	v_fma_f64 v[4:5], v[13:14], v[4:5], v[6:7]
	v_cndmask_b32_e64 v6, 0, 0xffffff80, vcc_lo
	v_cmp_class_f64_e64 vcc_lo, v[2:3], 0x260
	v_ldexp_f64 v[5:6], v[4:5], v6
	v_mov_b32_e32 v4, 0
	v_cndmask_b32_e32 v3, v6, v3, vcc_lo
	v_cndmask_b32_e32 v2, v5, v2, vcc_lo
	v_mov_b32_e32 v5, v4
	global_store_dwordx4 v[0:1], v[2:5], off
	s_and_b32 exec_lo, exec_lo, s1
	s_cbranch_execz .LBB40_50
; %bb.46:
	s_mov_b32 s2, exec_lo
	s_brev_b32 s1, -2
.LBB40_47:                              ; =>This Inner Loop Header: Depth=1
	s_ff1_i32_b32 s4, s2
	v_readlane_b32 s5, v12, s4
	s_lshl_b32 s4, 1, s4
	s_andn2_b32 s2, s2, s4
	s_min_i32 s1, s1, s5
	s_cmp_lg_u32 s2, 0
	s_cbranch_scc1 .LBB40_47
; %bb.48:
	v_mbcnt_lo_u32_b32 v0, exec_lo, 0
	s_mov_b32 s2, exec_lo
	v_cmpx_eq_u32_e32 0, v0
	s_xor_b32 s2, exec_lo, s2
	s_cbranch_execz .LBB40_50
; %bb.49:
	v_mov_b32_e32 v0, 0
	v_mov_b32_e32 v1, s1
	global_atomic_smin v0, v1, s[12:13]
.LBB40_50:
	s_or_b32 exec_lo, exec_lo, s3
	s_and_b32 exec_lo, exec_lo, s0
	s_cbranch_execz .LBB40_52
; %bb.51:
	v_add_co_u32 v0, vcc_lo, s8, v8
	v_add_co_ci_u32_e64 v1, null, s9, v9, vcc_lo
	v_mov_b32_e32 v2, 1
	s_waitcnt lgkmcnt(0)
	s_waitcnt_vscnt null, 0x0
	global_store_dword v[0:1], v2, off
.LBB40_52:
	s_endpgm
	.section	.rodata,"a",@progbits
	.p2align	6, 0x0
	.amdhsa_kernel _ZN9rocsparseL18csric0_hash_kernelILj256ELj32ELj1E21rocsparse_complex_numIdEEEviPKiS4_PT2_S4_PiS4_S7_S7_d21rocsparse_index_base_
		.amdhsa_group_segment_fixed_size 2048
		.amdhsa_private_segment_fixed_size 0
		.amdhsa_kernarg_size 84
		.amdhsa_user_sgpr_count 6
		.amdhsa_user_sgpr_private_segment_buffer 1
		.amdhsa_user_sgpr_dispatch_ptr 0
		.amdhsa_user_sgpr_queue_ptr 0
		.amdhsa_user_sgpr_kernarg_segment_ptr 1
		.amdhsa_user_sgpr_dispatch_id 0
		.amdhsa_user_sgpr_flat_scratch_init 0
		.amdhsa_user_sgpr_private_segment_size 0
		.amdhsa_wavefront_size32 1
		.amdhsa_uses_dynamic_stack 0
		.amdhsa_system_sgpr_private_segment_wavefront_offset 0
		.amdhsa_system_sgpr_workgroup_id_x 1
		.amdhsa_system_sgpr_workgroup_id_y 0
		.amdhsa_system_sgpr_workgroup_id_z 0
		.amdhsa_system_sgpr_workgroup_info 0
		.amdhsa_system_vgpr_workitem_id 0
		.amdhsa_next_free_vgpr 44
		.amdhsa_next_free_sgpr 30
		.amdhsa_reserve_vcc 1
		.amdhsa_reserve_flat_scratch 0
		.amdhsa_float_round_mode_32 0
		.amdhsa_float_round_mode_16_64 0
		.amdhsa_float_denorm_mode_32 3
		.amdhsa_float_denorm_mode_16_64 3
		.amdhsa_dx10_clamp 1
		.amdhsa_ieee_mode 1
		.amdhsa_fp16_overflow 0
		.amdhsa_workgroup_processor_mode 1
		.amdhsa_memory_ordered 1
		.amdhsa_forward_progress 1
		.amdhsa_shared_vgpr_count 0
		.amdhsa_exception_fp_ieee_invalid_op 0
		.amdhsa_exception_fp_denorm_src 0
		.amdhsa_exception_fp_ieee_div_zero 0
		.amdhsa_exception_fp_ieee_overflow 0
		.amdhsa_exception_fp_ieee_underflow 0
		.amdhsa_exception_fp_ieee_inexact 0
		.amdhsa_exception_int_div_zero 0
	.end_amdhsa_kernel
	.section	.text._ZN9rocsparseL18csric0_hash_kernelILj256ELj32ELj1E21rocsparse_complex_numIdEEEviPKiS4_PT2_S4_PiS4_S7_S7_d21rocsparse_index_base_,"axG",@progbits,_ZN9rocsparseL18csric0_hash_kernelILj256ELj32ELj1E21rocsparse_complex_numIdEEEviPKiS4_PT2_S4_PiS4_S7_S7_d21rocsparse_index_base_,comdat
.Lfunc_end40:
	.size	_ZN9rocsparseL18csric0_hash_kernelILj256ELj32ELj1E21rocsparse_complex_numIdEEEviPKiS4_PT2_S4_PiS4_S7_S7_d21rocsparse_index_base_, .Lfunc_end40-_ZN9rocsparseL18csric0_hash_kernelILj256ELj32ELj1E21rocsparse_complex_numIdEEEviPKiS4_PT2_S4_PiS4_S7_S7_d21rocsparse_index_base_
                                        ; -- End function
	.set _ZN9rocsparseL18csric0_hash_kernelILj256ELj32ELj1E21rocsparse_complex_numIdEEEviPKiS4_PT2_S4_PiS4_S7_S7_d21rocsparse_index_base_.num_vgpr, 44
	.set _ZN9rocsparseL18csric0_hash_kernelILj256ELj32ELj1E21rocsparse_complex_numIdEEEviPKiS4_PT2_S4_PiS4_S7_S7_d21rocsparse_index_base_.num_agpr, 0
	.set _ZN9rocsparseL18csric0_hash_kernelILj256ELj32ELj1E21rocsparse_complex_numIdEEEviPKiS4_PT2_S4_PiS4_S7_S7_d21rocsparse_index_base_.numbered_sgpr, 30
	.set _ZN9rocsparseL18csric0_hash_kernelILj256ELj32ELj1E21rocsparse_complex_numIdEEEviPKiS4_PT2_S4_PiS4_S7_S7_d21rocsparse_index_base_.num_named_barrier, 0
	.set _ZN9rocsparseL18csric0_hash_kernelILj256ELj32ELj1E21rocsparse_complex_numIdEEEviPKiS4_PT2_S4_PiS4_S7_S7_d21rocsparse_index_base_.private_seg_size, 0
	.set _ZN9rocsparseL18csric0_hash_kernelILj256ELj32ELj1E21rocsparse_complex_numIdEEEviPKiS4_PT2_S4_PiS4_S7_S7_d21rocsparse_index_base_.uses_vcc, 1
	.set _ZN9rocsparseL18csric0_hash_kernelILj256ELj32ELj1E21rocsparse_complex_numIdEEEviPKiS4_PT2_S4_PiS4_S7_S7_d21rocsparse_index_base_.uses_flat_scratch, 0
	.set _ZN9rocsparseL18csric0_hash_kernelILj256ELj32ELj1E21rocsparse_complex_numIdEEEviPKiS4_PT2_S4_PiS4_S7_S7_d21rocsparse_index_base_.has_dyn_sized_stack, 0
	.set _ZN9rocsparseL18csric0_hash_kernelILj256ELj32ELj1E21rocsparse_complex_numIdEEEviPKiS4_PT2_S4_PiS4_S7_S7_d21rocsparse_index_base_.has_recursion, 0
	.set _ZN9rocsparseL18csric0_hash_kernelILj256ELj32ELj1E21rocsparse_complex_numIdEEEviPKiS4_PT2_S4_PiS4_S7_S7_d21rocsparse_index_base_.has_indirect_call, 0
	.section	.AMDGPU.csdata,"",@progbits
; Kernel info:
; codeLenInByte = 3120
; TotalNumSgprs: 32
; NumVgprs: 44
; ScratchSize: 0
; MemoryBound: 0
; FloatMode: 240
; IeeeMode: 1
; LDSByteSize: 2048 bytes/workgroup (compile time only)
; SGPRBlocks: 0
; VGPRBlocks: 5
; NumSGPRsForWavesPerEU: 32
; NumVGPRsForWavesPerEU: 44
; Occupancy: 16
; WaveLimiterHint : 1
; COMPUTE_PGM_RSRC2:SCRATCH_EN: 0
; COMPUTE_PGM_RSRC2:USER_SGPR: 6
; COMPUTE_PGM_RSRC2:TRAP_HANDLER: 0
; COMPUTE_PGM_RSRC2:TGID_X_EN: 1
; COMPUTE_PGM_RSRC2:TGID_Y_EN: 0
; COMPUTE_PGM_RSRC2:TGID_Z_EN: 0
; COMPUTE_PGM_RSRC2:TIDIG_COMP_CNT: 0
	.section	.text._ZN9rocsparseL18csric0_hash_kernelILj256ELj32ELj2E21rocsparse_complex_numIdEEEviPKiS4_PT2_S4_PiS4_S7_S7_d21rocsparse_index_base_,"axG",@progbits,_ZN9rocsparseL18csric0_hash_kernelILj256ELj32ELj2E21rocsparse_complex_numIdEEEviPKiS4_PT2_S4_PiS4_S7_S7_d21rocsparse_index_base_,comdat
	.globl	_ZN9rocsparseL18csric0_hash_kernelILj256ELj32ELj2E21rocsparse_complex_numIdEEEviPKiS4_PT2_S4_PiS4_S7_S7_d21rocsparse_index_base_ ; -- Begin function _ZN9rocsparseL18csric0_hash_kernelILj256ELj32ELj2E21rocsparse_complex_numIdEEEviPKiS4_PT2_S4_PiS4_S7_S7_d21rocsparse_index_base_
	.p2align	8
	.type	_ZN9rocsparseL18csric0_hash_kernelILj256ELj32ELj2E21rocsparse_complex_numIdEEEviPKiS4_PT2_S4_PiS4_S7_S7_d21rocsparse_index_base_,@function
_ZN9rocsparseL18csric0_hash_kernelILj256ELj32ELj2E21rocsparse_complex_numIdEEEviPKiS4_PT2_S4_PiS4_S7_S7_d21rocsparse_index_base_: ; @_ZN9rocsparseL18csric0_hash_kernelILj256ELj32ELj2E21rocsparse_complex_numIdEEEviPKiS4_PT2_S4_PiS4_S7_S7_d21rocsparse_index_base_
; %bb.0:
	s_clause 0x1
	s_load_dwordx8 s[16:23], s[4:5], 0x8
	s_load_dwordx8 s[8:15], s[4:5], 0x28
	v_lshrrev_b32_e32 v1, 5, v0
	v_and_b32_e32 v28, 31, v0
	s_mov_b32 s0, 0
	v_lshlrev_b32_e32 v3, 8, v1
	v_lshlrev_b32_e32 v4, 2, v28
	v_or_b32_e32 v2, 0xffffffe0, v28
	v_or3_b32 v3, v3, v4, 0x800
	v_mov_b32_e32 v4, -1
.LBB41_1:                               ; =>This Inner Loop Header: Depth=1
	v_add_co_u32 v2, s1, v2, 32
	s_xor_b32 s1, s1, -1
	ds_write_b32 v3, v4
	v_add_nc_u32_e32 v3, 0x80, v3
	s_and_b32 s1, exec_lo, s1
	s_or_b32 s0, s1, s0
	s_andn2_b32 exec_lo, exec_lo, s0
	s_cbranch_execnz .LBB41_1
; %bb.2:
	s_or_b32 exec_lo, exec_lo, s0
	s_load_dword s0, s[4:5], 0x0
	s_lshl_b32 s1, s6, 3
	s_waitcnt lgkmcnt(0)
	buffer_gl0_inv
	v_and_or_b32 v1, 0x7fffff8, s1, v1
	v_cmp_gt_i32_e32 vcc_lo, s0, v1
	s_and_saveexec_b32 s0, vcc_lo
	s_cbranch_execz .LBB41_54
; %bb.3:
	v_lshlrev_b32_e32 v1, 2, v1
	s_load_dword s2, s[4:5], 0x50
	v_lshlrev_b32_e32 v0, 3, v0
	s_mov_b32 s0, exec_lo
	global_load_dword v10, v1, s[10:11]
	v_and_b32_e32 v29, 0x700, v0
	v_or_b32_e32 v30, 0x800, v29
	s_waitcnt vmcnt(0)
	v_ashrrev_i32_e32 v11, 31, v10
	v_lshlrev_b64 v[8:9], 2, v[10:11]
	v_add_co_u32 v1, vcc_lo, s16, v8
	v_add_co_ci_u32_e64 v2, null, s17, v9, vcc_lo
	v_add_co_u32 v3, vcc_lo, s22, v8
	v_add_co_ci_u32_e64 v4, null, s23, v9, vcc_lo
	global_load_dwordx2 v[1:2], v[1:2], off
	global_load_dword v11, v[3:4], off
	s_waitcnt vmcnt(1) lgkmcnt(0)
	v_subrev_nc_u32_e32 v12, s2, v1
	v_subrev_nc_u32_e32 v2, s2, v2
	v_add_nc_u32_e32 v0, v12, v28
	v_cmpx_lt_i32_e64 v0, v2
	s_cbranch_execz .LBB41_13
; %bb.4:
	v_mov_b32_e32 v3, -1
	s_mov_b32 s1, 0
	s_branch .LBB41_6
.LBB41_5:                               ;   in Loop: Header=BB41_6 Depth=1
	s_or_b32 exec_lo, exec_lo, s3
	v_add_nc_u32_e32 v0, 32, v0
	v_cmp_ge_i32_e32 vcc_lo, v0, v2
	s_or_b32 s1, vcc_lo, s1
	s_andn2_b32 exec_lo, exec_lo, s1
	s_cbranch_execz .LBB41_13
.LBB41_6:                               ; =>This Loop Header: Depth=1
                                        ;     Child Loop BB41_9 Depth 2
	v_ashrrev_i32_e32 v1, 31, v0
	s_mov_b32 s3, exec_lo
	v_lshlrev_b64 v[4:5], 2, v[0:1]
	v_add_co_u32 v4, vcc_lo, s18, v4
	v_add_co_ci_u32_e64 v5, null, s19, v5, vcc_lo
	global_load_dword v1, v[4:5], off
	s_waitcnt vmcnt(0)
	v_mul_lo_u32 v4, v1, 39
	v_and_b32_e32 v4, 63, v4
	v_lshl_add_u32 v5, v4, 2, v30
	ds_read_b32 v6, v5
	s_waitcnt lgkmcnt(0)
	v_cmpx_ne_u32_e64 v6, v1
	s_cbranch_execz .LBB41_5
; %bb.7:                                ;   in Loop: Header=BB41_6 Depth=1
	s_mov_b32 s6, 0
                                        ; implicit-def: $sgpr7
                                        ; implicit-def: $sgpr11
                                        ; implicit-def: $sgpr10
	s_inst_prefetch 0x1
	s_branch .LBB41_9
	.p2align	6
.LBB41_8:                               ;   in Loop: Header=BB41_9 Depth=2
	s_or_b32 exec_lo, exec_lo, s24
	s_and_b32 s24, exec_lo, s11
	s_or_b32 s6, s24, s6
	s_andn2_b32 s7, s7, exec_lo
	s_and_b32 s24, s10, exec_lo
	s_or_b32 s7, s7, s24
	s_andn2_b32 exec_lo, exec_lo, s6
	s_cbranch_execz .LBB41_11
.LBB41_9:                               ;   Parent Loop BB41_6 Depth=1
                                        ; =>  This Inner Loop Header: Depth=2
	ds_cmpst_rtn_b32 v5, v5, v3, v1
	v_mov_b32_e32 v6, v4
	s_or_b32 s10, s10, exec_lo
	s_or_b32 s11, s11, exec_lo
                                        ; implicit-def: $vgpr4
	s_waitcnt lgkmcnt(0)
	v_cmp_ne_u32_e32 vcc_lo, -1, v5
                                        ; implicit-def: $vgpr5
	s_and_saveexec_b32 s24, vcc_lo
	s_cbranch_execz .LBB41_8
; %bb.10:                               ;   in Loop: Header=BB41_9 Depth=2
	v_add_nc_u32_e32 v4, 1, v6
	s_andn2_b32 s11, s11, exec_lo
	s_andn2_b32 s10, s10, exec_lo
	v_and_b32_e32 v4, 63, v4
	v_lshl_add_u32 v5, v4, 2, v30
	ds_read_b32 v7, v5
	s_waitcnt lgkmcnt(0)
	v_cmp_eq_u32_e32 vcc_lo, v7, v1
	s_and_b32 s25, vcc_lo, exec_lo
	s_or_b32 s11, s11, s25
	s_branch .LBB41_8
.LBB41_11:                              ;   in Loop: Header=BB41_6 Depth=1
	s_inst_prefetch 0x2
	s_or_b32 exec_lo, exec_lo, s6
	s_and_saveexec_b32 s6, s7
	s_xor_b32 s6, exec_lo, s6
	s_cbranch_execz .LBB41_5
; %bb.12:                               ;   in Loop: Header=BB41_6 Depth=1
	v_lshl_add_u32 v1, v6, 2, v29
	ds_write_b32 v1, v0
	s_branch .LBB41_5
.LBB41_13:
	s_or_b32 exec_lo, exec_lo, s0
	v_mov_b32_e32 v14, 0
	v_mov_b32_e32 v16, 0
	;; [unrolled: 1-line block ×4, first 2 shown]
	s_mov_b32 s3, exec_lo
	s_waitcnt vmcnt(0) lgkmcnt(0)
	buffer_gl0_inv
	v_cmpx_lt_i32_e64 v12, v11
	s_cbranch_execz .LBB41_35
; %bb.14:
	v_mbcnt_lo_u32_b32 v31, -1, 0
	v_mov_b32_e32 v14, 0
	v_mov_b32_e32 v16, 0
	v_add_nc_u32_e32 v32, -1, v11
	v_subrev_nc_u32_e32 v33, s2, v28
	v_cmp_eq_u32_e64 s0, 31, v28
	v_mov_b32_e32 v15, 0
	v_xor_b32_e32 v34, 16, v31
	v_xor_b32_e32 v35, 8, v31
	;; [unrolled: 1-line block ×4, first 2 shown]
	v_mov_b32_e32 v17, 0
	v_xor_b32_e32 v38, 1, v31
	s_mov_b32 s6, 0
	s_branch .LBB41_17
.LBB41_15:                              ;   in Loop: Header=BB41_17 Depth=1
	s_or_b32 exec_lo, exec_lo, s7
	v_add_nc_u32_e32 v12, 1, v12
	v_cmp_ge_i32_e32 vcc_lo, v12, v11
	s_orn2_b32 s7, vcc_lo, exec_lo
.LBB41_16:                              ;   in Loop: Header=BB41_17 Depth=1
	s_or_b32 exec_lo, exec_lo, s1
	s_and_b32 s1, exec_lo, s7
	s_or_b32 s6, s1, s6
	s_andn2_b32 exec_lo, exec_lo, s6
	s_cbranch_execz .LBB41_34
.LBB41_17:                              ; =>This Loop Header: Depth=1
                                        ;     Child Loop BB41_18 Depth 2
                                        ;     Child Loop BB41_24 Depth 2
                                        ;       Child Loop BB41_27 Depth 3
	v_ashrrev_i32_e32 v13, 31, v12
	s_mov_b32 s1, 0
	v_lshlrev_b64 v[0:1], 2, v[12:13]
	v_lshlrev_b64 v[2:3], 4, v[12:13]
	v_add_co_u32 v0, vcc_lo, s18, v0
	v_add_co_ci_u32_e64 v1, null, s19, v1, vcc_lo
	v_add_co_u32 v18, vcc_lo, s20, v2
	v_add_co_ci_u32_e64 v19, null, s21, v3, vcc_lo
	global_load_dword v0, v[0:1], off
	s_waitcnt vmcnt(0)
	v_subrev_nc_u32_e32 v0, s2, v0
	v_ashrrev_i32_e32 v1, 31, v0
	v_lshlrev_b64 v[4:5], 2, v[0:1]
	v_add_co_u32 v6, vcc_lo, s16, v4
	v_add_co_ci_u32_e64 v7, null, s17, v5, vcc_lo
	v_add_co_u32 v20, vcc_lo, s22, v4
	v_add_co_ci_u32_e64 v21, null, s23, v5, vcc_lo
	global_load_dwordx4 v[0:3], v[18:19], off
	global_load_dword v13, v[6:7], off
	global_load_dword v6, v[20:21], off
	v_add_co_u32 v4, vcc_lo, s8, v4
	v_add_co_ci_u32_e64 v5, null, s9, v5, vcc_lo
.LBB41_18:                              ;   Parent Loop BB41_17 Depth=1
                                        ; =>  This Inner Loop Header: Depth=2
	global_load_dword v7, v[4:5], off glc dlc
	s_waitcnt vmcnt(0)
	v_cmp_ne_u32_e32 vcc_lo, 0, v7
	s_or_b32 s1, vcc_lo, s1
	s_andn2_b32 exec_lo, exec_lo, s1
	s_cbranch_execnz .LBB41_18
; %bb.19:                               ;   in Loop: Header=BB41_17 Depth=1
	s_or_b32 exec_lo, exec_lo, s1
	v_cmp_eq_u32_e32 vcc_lo, -1, v6
	buffer_gl1_inv
	buffer_gl0_inv
	s_mov_b32 s7, -1
	s_waitcnt lgkmcnt(3)
	v_cndmask_b32_e32 v24, v6, v32, vcc_lo
	s_waitcnt lgkmcnt(2)
	v_ashrrev_i32_e32 v25, 31, v24
	v_lshlrev_b64 v[4:5], 4, v[24:25]
	v_add_co_u32 v4, vcc_lo, s20, v4
	v_add_co_ci_u32_e64 v5, null, s21, v5, vcc_lo
	global_load_dwordx4 v[4:7], v[4:5], off
	s_waitcnt vmcnt(0)
	v_cmp_neq_f64_e32 vcc_lo, 0, v[4:5]
	v_cmp_neq_f64_e64 s1, 0, v[6:7]
	s_or_b32 s10, vcc_lo, s1
	s_and_saveexec_b32 s1, s10
	s_cbranch_execz .LBB41_16
; %bb.20:                               ;   in Loop: Header=BB41_17 Depth=1
	v_mov_b32_e32 v20, 0
	v_mov_b32_e32 v22, 0
	v_add_nc_u32_e32 v25, v33, v13
	v_mov_b32_e32 v21, 0
	v_mov_b32_e32 v23, 0
	s_mov_b32 s7, exec_lo
	v_cmpx_lt_i32_e64 v25, v24
	s_cbranch_execz .LBB41_32
; %bb.21:                               ;   in Loop: Header=BB41_17 Depth=1
	v_mov_b32_e32 v20, 0
	v_mov_b32_e32 v22, 0
	;; [unrolled: 1-line block ×4, first 2 shown]
	s_mov_b32 s10, 0
	s_branch .LBB41_24
.LBB41_22:                              ;   in Loop: Header=BB41_24 Depth=2
	s_or_b32 exec_lo, exec_lo, s24
.LBB41_23:                              ;   in Loop: Header=BB41_24 Depth=2
	s_or_b32 exec_lo, exec_lo, s11
	v_add_nc_u32_e32 v25, 32, v25
	v_cmp_ge_i32_e32 vcc_lo, v25, v24
	s_or_b32 s10, vcc_lo, s10
	s_andn2_b32 exec_lo, exec_lo, s10
	s_cbranch_execz .LBB41_31
.LBB41_24:                              ;   Parent Loop BB41_17 Depth=1
                                        ; =>  This Loop Header: Depth=2
                                        ;       Child Loop BB41_27 Depth 3
	s_waitcnt lgkmcnt(1)
	v_ashrrev_i32_e32 v26, 31, v25
	s_mov_b32 s11, exec_lo
	v_lshlrev_b64 v[39:40], 2, v[25:26]
	v_add_co_u32 v39, vcc_lo, s18, v39
	v_add_co_ci_u32_e64 v40, null, s19, v40, vcc_lo
	global_load_dword v13, v[39:40], off
	s_waitcnt vmcnt(0) lgkmcnt(0)
	v_mul_lo_u32 v27, v13, 39
	v_and_b32_e32 v40, 63, v27
	v_lshl_add_u32 v27, v40, 2, v30
	ds_read_b32 v39, v27
	s_waitcnt lgkmcnt(0)
	v_cmpx_ne_u32_e32 -1, v39
	s_cbranch_execz .LBB41_23
; %bb.25:                               ;   in Loop: Header=BB41_24 Depth=2
	s_mov_b32 s25, 0
                                        ; implicit-def: $sgpr24
                                        ; implicit-def: $sgpr27
                                        ; implicit-def: $sgpr26
	s_inst_prefetch 0x1
	s_branch .LBB41_27
	.p2align	6
.LBB41_26:                              ;   in Loop: Header=BB41_27 Depth=3
	s_or_b32 exec_lo, exec_lo, s28
	s_and_b32 s28, exec_lo, s27
	s_or_b32 s25, s28, s25
	s_andn2_b32 s24, s24, exec_lo
	s_and_b32 s28, s26, exec_lo
	s_or_b32 s24, s24, s28
	s_andn2_b32 exec_lo, exec_lo, s25
	s_cbranch_execz .LBB41_29
.LBB41_27:                              ;   Parent Loop BB41_17 Depth=1
                                        ;     Parent Loop BB41_24 Depth=2
                                        ; =>    This Inner Loop Header: Depth=3
	v_mov_b32_e32 v27, v40
	v_cmp_ne_u32_e32 vcc_lo, v39, v13
	s_or_b32 s26, s26, exec_lo
	s_or_b32 s27, s27, exec_lo
                                        ; implicit-def: $vgpr40
                                        ; implicit-def: $vgpr39
	s_and_saveexec_b32 s28, vcc_lo
	s_cbranch_execz .LBB41_26
; %bb.28:                               ;   in Loop: Header=BB41_27 Depth=3
	v_add_nc_u32_e32 v39, 1, v27
	s_andn2_b32 s27, s27, exec_lo
	s_andn2_b32 s26, s26, exec_lo
	v_and_b32_e32 v40, 63, v39
	v_lshl_add_u32 v39, v40, 2, v30
	ds_read_b32 v39, v39
	s_waitcnt lgkmcnt(0)
	v_cmp_eq_u32_e32 vcc_lo, -1, v39
	s_and_b32 s29, vcc_lo, exec_lo
	s_or_b32 s27, s27, s29
	s_branch .LBB41_26
.LBB41_29:                              ;   in Loop: Header=BB41_24 Depth=2
	s_inst_prefetch 0x2
	s_or_b32 exec_lo, exec_lo, s25
	s_and_saveexec_b32 s25, s24
	s_xor_b32 s24, exec_lo, s25
	s_cbranch_execz .LBB41_22
; %bb.30:                               ;   in Loop: Header=BB41_24 Depth=2
	v_lshl_add_u32 v13, v27, 2, v29
	v_lshlrev_b64 v[26:27], 4, v[25:26]
	ds_read_b32 v39, v13
	v_add_co_u32 v26, vcc_lo, s20, v26
	v_add_co_ci_u32_e64 v27, null, s21, v27, vcc_lo
	s_waitcnt lgkmcnt(0)
	v_ashrrev_i32_e32 v40, 31, v39
	v_lshlrev_b64 v[39:40], 4, v[39:40]
	v_add_co_u32 v43, vcc_lo, s20, v39
	v_add_co_ci_u32_e64 v44, null, s21, v40, vcc_lo
	s_clause 0x1
	global_load_dwordx4 v[39:42], v[26:27], off
	global_load_dwordx4 v[43:46], v[43:44], off
	s_waitcnt vmcnt(0)
	v_fma_f64 v[22:23], v[39:40], v[43:44], v[22:23]
	v_fma_f64 v[20:21], v[41:42], v[43:44], v[20:21]
	;; [unrolled: 1-line block ×3, first 2 shown]
	v_fma_f64 v[20:21], v[39:40], -v[45:46], v[20:21]
	s_branch .LBB41_22
.LBB41_31:                              ;   in Loop: Header=BB41_17 Depth=1
	s_or_b32 exec_lo, exec_lo, s10
.LBB41_32:                              ;   in Loop: Header=BB41_17 Depth=1
	s_or_b32 exec_lo, exec_lo, s7
	v_cmp_gt_i32_e32 vcc_lo, 32, v34
	v_cndmask_b32_e32 v13, v31, v34, vcc_lo
	v_cmp_gt_i32_e32 vcc_lo, 32, v35
	v_lshlrev_b32_e32 v13, 2, v13
	ds_bpermute_b32 v24, v13, v22
	ds_bpermute_b32 v25, v13, v23
	s_waitcnt lgkmcnt(3)
	ds_bpermute_b32 v26, v13, v20
	s_waitcnt lgkmcnt(3)
	ds_bpermute_b32 v27, v13, v21
	v_cndmask_b32_e32 v13, v31, v35, vcc_lo
	v_cmp_gt_i32_e32 vcc_lo, 32, v36
	v_lshlrev_b32_e32 v13, 2, v13
	s_waitcnt lgkmcnt(2)
	v_add_f64 v[22:23], v[22:23], v[24:25]
	s_waitcnt lgkmcnt(0)
	v_add_f64 v[20:21], v[20:21], v[26:27]
	ds_bpermute_b32 v24, v13, v22
	ds_bpermute_b32 v25, v13, v23
	ds_bpermute_b32 v26, v13, v20
	ds_bpermute_b32 v27, v13, v21
	v_cndmask_b32_e32 v13, v31, v36, vcc_lo
	v_cmp_gt_i32_e32 vcc_lo, 32, v37
	v_lshlrev_b32_e32 v13, 2, v13
	s_waitcnt lgkmcnt(2)
	v_add_f64 v[22:23], v[22:23], v[24:25]
	s_waitcnt lgkmcnt(0)
	v_add_f64 v[20:21], v[20:21], v[26:27]
	ds_bpermute_b32 v24, v13, v22
	ds_bpermute_b32 v25, v13, v23
	ds_bpermute_b32 v26, v13, v20
	;; [unrolled: 11-line block ×3, first 2 shown]
	ds_bpermute_b32 v27, v13, v25
	v_cndmask_b32_e32 v13, v31, v38, vcc_lo
	v_lshlrev_b32_e32 v13, 2, v13
	s_waitcnt lgkmcnt(2)
	v_add_f64 v[20:21], v[22:23], v[20:21]
	s_waitcnt lgkmcnt(0)
	v_add_f64 v[22:23], v[24:25], v[26:27]
	ds_bpermute_b32 v24, v13, v20
	ds_bpermute_b32 v25, v13, v21
	;; [unrolled: 1-line block ×4, first 2 shown]
	s_and_saveexec_b32 s7, s0
	s_cbranch_execz .LBB41_15
; %bb.33:                               ;   in Loop: Header=BB41_17 Depth=1
	v_mul_f64 v[39:40], v[6:7], v[6:7]
	s_waitcnt lgkmcnt(0)
	v_add_f64 v[22:23], v[22:23], v[26:27]
	v_add_f64 v[20:21], v[20:21], v[24:25]
	v_fma_f64 v[39:40], v[4:5], v[4:5], v[39:40]
	v_add_f64 v[2:3], v[2:3], -v[22:23]
	v_add_f64 v[0:1], v[0:1], -v[20:21]
	v_div_scale_f64 v[41:42], null, v[39:40], v[39:40], 1.0
	v_div_scale_f64 v[47:48], vcc_lo, 1.0, v[39:40], 1.0
	v_rcp_f64_e32 v[43:44], v[41:42]
	v_fma_f64 v[45:46], -v[41:42], v[43:44], 1.0
	v_fma_f64 v[43:44], v[43:44], v[45:46], v[43:44]
	v_fma_f64 v[45:46], -v[41:42], v[43:44], 1.0
	v_fma_f64 v[43:44], v[43:44], v[45:46], v[43:44]
	v_mul_f64 v[45:46], v[47:48], v[43:44]
	v_fma_f64 v[41:42], -v[41:42], v[45:46], v[47:48]
	v_div_fmas_f64 v[41:42], v[41:42], v[43:44], v[45:46]
	v_fma_f64 v[43:44], v[4:5], 0, -v[6:7]
	v_fma_f64 v[4:5], v[6:7], 0, v[4:5]
	v_div_fixup_f64 v[26:27], v[41:42], v[39:40], 1.0
	v_mul_f64 v[6:7], v[43:44], v[26:27]
	v_mul_f64 v[4:5], v[4:5], v[26:27]
	v_mul_f64 v[20:21], v[6:7], -v[2:3]
	v_mul_f64 v[6:7], v[6:7], v[0:1]
	v_fma_f64 v[0:1], v[0:1], v[4:5], v[20:21]
	v_fma_f64 v[2:3], v[2:3], v[4:5], v[6:7]
	v_fma_f64 v[4:5], v[0:1], v[0:1], v[16:17]
	v_fma_f64 v[6:7], v[2:3], v[0:1], v[14:15]
	global_store_dwordx4 v[18:19], v[0:3], off
	v_fma_f64 v[16:17], v[2:3], v[2:3], v[4:5]
	v_fma_f64 v[14:15], v[0:1], -v[2:3], v[6:7]
	s_branch .LBB41_15
.LBB41_34:
	s_or_b32 exec_lo, exec_lo, s6
.LBB41_35:
	s_or_b32 exec_lo, exec_lo, s3
	v_cmp_eq_u32_e64 s0, 31, v28
	v_cmp_lt_i32_e32 vcc_lo, -1, v11
	s_and_b32 s1, s0, vcc_lo
	s_and_saveexec_b32 s3, s1
	s_cbranch_execz .LBB41_52
; %bb.36:
	v_mov_b32_e32 v12, 0
	s_load_dwordx2 s[4:5], s[4:5], 0x48
	v_lshlrev_b64 v[0:1], 4, v[11:12]
	v_add_co_u32 v0, vcc_lo, s20, v0
	v_add_co_ci_u32_e64 v1, null, s21, v1, vcc_lo
	global_load_dwordx4 v[2:5], v[0:1], off
	s_waitcnt lgkmcnt(0)
	v_mul_f64 v[11:12], s[4:5], s[4:5]
	s_waitcnt vmcnt(0)
	v_add_f64 v[2:3], v[2:3], -v[16:17]
	v_add_f64 v[6:7], v[4:5], -v[14:15]
	v_cmp_le_f64_e32 vcc_lo, v[2:3], v[11:12]
	v_cmp_eq_f64_e64 s1, 0, v[6:7]
	v_add_nc_u32_e32 v12, s2, v10
	s_and_b32 s2, vcc_lo, s1
	s_and_saveexec_b32 s1, s2
	s_cbranch_execz .LBB41_41
; %bb.37:
	s_mov_b32 s4, exec_lo
	s_brev_b32 s2, -2
.LBB41_38:                              ; =>This Inner Loop Header: Depth=1
	s_ff1_i32_b32 s5, s4
	v_readlane_b32 s6, v12, s5
	s_lshl_b32 s5, 1, s5
	s_andn2_b32 s4, s4, s5
	s_min_i32 s2, s2, s6
	s_cmp_lg_u32 s4, 0
	s_cbranch_scc1 .LBB41_38
; %bb.39:
	v_mbcnt_lo_u32_b32 v4, exec_lo, 0
	s_mov_b32 s4, exec_lo
	v_cmpx_eq_u32_e32 0, v4
	s_xor_b32 s4, exec_lo, s4
	s_cbranch_execz .LBB41_41
; %bb.40:
	v_mov_b32_e32 v4, 0
	v_mov_b32_e32 v5, s2
	global_atomic_smin v4, v5, s[14:15]
.LBB41_41:
	s_or_b32 exec_lo, exec_lo, s1
	v_cmp_gt_f64_e32 vcc_lo, 0, v[2:3]
	v_xor_b32_e32 v4, 0x80000000, v3
	v_xor_b32_e32 v5, 0x80000000, v7
	s_mov_b32 s1, exec_lo
                                        ; implicit-def: $vgpr10_vgpr11
	v_cndmask_b32_e32 v3, v3, v4, vcc_lo
	v_cmp_gt_f64_e32 vcc_lo, 0, v[6:7]
	v_mov_b32_e32 v4, v6
	v_cndmask_b32_e32 v5, v7, v5, vcc_lo
	v_cmpx_ngt_f64_e32 v[2:3], v[4:5]
	s_xor_b32 s1, exec_lo, s1
	s_cbranch_execz .LBB41_45
; %bb.42:
	v_mov_b32_e32 v10, 0
	v_mov_b32_e32 v11, 0
	s_mov_b32 s2, exec_lo
	v_cmpx_neq_f64_e32 0, v[6:7]
	s_cbranch_execz .LBB41_44
; %bb.43:
	v_div_scale_f64 v[6:7], null, v[4:5], v[4:5], v[2:3]
	v_div_scale_f64 v[15:16], vcc_lo, v[2:3], v[4:5], v[2:3]
	v_rcp_f64_e32 v[10:11], v[6:7]
	v_fma_f64 v[13:14], -v[6:7], v[10:11], 1.0
	v_fma_f64 v[10:11], v[10:11], v[13:14], v[10:11]
	v_fma_f64 v[13:14], -v[6:7], v[10:11], 1.0
	v_fma_f64 v[10:11], v[10:11], v[13:14], v[10:11]
	v_mul_f64 v[13:14], v[15:16], v[10:11]
	v_fma_f64 v[6:7], -v[6:7], v[13:14], v[15:16]
	v_div_fmas_f64 v[6:7], v[6:7], v[10:11], v[13:14]
	v_div_fixup_f64 v[2:3], v[6:7], v[4:5], v[2:3]
	v_fma_f64 v[2:3], v[2:3], v[2:3], 1.0
	v_cmp_gt_f64_e32 vcc_lo, 0x10000000, v[2:3]
	v_cndmask_b32_e64 v6, 0, 0x100, vcc_lo
	v_ldexp_f64 v[2:3], v[2:3], v6
	v_rsq_f64_e32 v[6:7], v[2:3]
	v_mul_f64 v[10:11], v[2:3], v[6:7]
	v_mul_f64 v[6:7], v[6:7], 0.5
	v_fma_f64 v[13:14], -v[6:7], v[10:11], 0.5
	v_fma_f64 v[10:11], v[10:11], v[13:14], v[10:11]
	v_fma_f64 v[6:7], v[6:7], v[13:14], v[6:7]
	v_fma_f64 v[13:14], -v[10:11], v[10:11], v[2:3]
	v_fma_f64 v[10:11], v[13:14], v[6:7], v[10:11]
	v_fma_f64 v[13:14], -v[10:11], v[10:11], v[2:3]
	v_fma_f64 v[6:7], v[13:14], v[6:7], v[10:11]
	v_cndmask_b32_e64 v10, 0, 0xffffff80, vcc_lo
	v_cmp_class_f64_e64 vcc_lo, v[2:3], 0x260
	v_ldexp_f64 v[6:7], v[6:7], v10
	v_cndmask_b32_e32 v3, v7, v3, vcc_lo
	v_cndmask_b32_e32 v2, v6, v2, vcc_lo
	v_mul_f64 v[10:11], v[4:5], v[2:3]
.LBB41_44:
	s_or_b32 exec_lo, exec_lo, s2
                                        ; implicit-def: $vgpr2_vgpr3
                                        ; implicit-def: $vgpr4_vgpr5
.LBB41_45:
	s_andn2_saveexec_b32 s1, s1
	s_cbranch_execz .LBB41_47
; %bb.46:
	v_div_scale_f64 v[6:7], null, v[2:3], v[2:3], v[4:5]
	v_div_scale_f64 v[15:16], vcc_lo, v[4:5], v[2:3], v[4:5]
	v_rcp_f64_e32 v[10:11], v[6:7]
	v_fma_f64 v[13:14], -v[6:7], v[10:11], 1.0
	v_fma_f64 v[10:11], v[10:11], v[13:14], v[10:11]
	v_fma_f64 v[13:14], -v[6:7], v[10:11], 1.0
	v_fma_f64 v[10:11], v[10:11], v[13:14], v[10:11]
	v_mul_f64 v[13:14], v[15:16], v[10:11]
	v_fma_f64 v[6:7], -v[6:7], v[13:14], v[15:16]
	v_div_fmas_f64 v[6:7], v[6:7], v[10:11], v[13:14]
	v_div_fixup_f64 v[4:5], v[6:7], v[2:3], v[4:5]
	v_fma_f64 v[4:5], v[4:5], v[4:5], 1.0
	v_cmp_gt_f64_e32 vcc_lo, 0x10000000, v[4:5]
	v_cndmask_b32_e64 v6, 0, 0x100, vcc_lo
	v_ldexp_f64 v[4:5], v[4:5], v6
	v_rsq_f64_e32 v[6:7], v[4:5]
	v_mul_f64 v[10:11], v[4:5], v[6:7]
	v_mul_f64 v[6:7], v[6:7], 0.5
	v_fma_f64 v[13:14], -v[6:7], v[10:11], 0.5
	v_fma_f64 v[10:11], v[10:11], v[13:14], v[10:11]
	v_fma_f64 v[6:7], v[6:7], v[13:14], v[6:7]
	v_fma_f64 v[13:14], -v[10:11], v[10:11], v[4:5]
	v_fma_f64 v[10:11], v[13:14], v[6:7], v[10:11]
	v_fma_f64 v[13:14], -v[10:11], v[10:11], v[4:5]
	v_fma_f64 v[6:7], v[13:14], v[6:7], v[10:11]
	v_cndmask_b32_e64 v10, 0, 0xffffff80, vcc_lo
	v_cmp_class_f64_e64 vcc_lo, v[4:5], 0x260
	v_ldexp_f64 v[6:7], v[6:7], v10
	v_cndmask_b32_e32 v5, v7, v5, vcc_lo
	v_cndmask_b32_e32 v4, v6, v4, vcc_lo
	v_mul_f64 v[10:11], v[2:3], v[4:5]
.LBB41_47:
	s_or_b32 exec_lo, exec_lo, s1
	v_cmp_gt_f64_e32 vcc_lo, 0x10000000, v[10:11]
	v_cmp_eq_f64_e64 s1, 0, v[10:11]
	v_cndmask_b32_e64 v2, 0, 0x100, vcc_lo
	v_ldexp_f64 v[2:3], v[10:11], v2
	v_rsq_f64_e32 v[4:5], v[2:3]
	v_mul_f64 v[6:7], v[2:3], v[4:5]
	v_mul_f64 v[4:5], v[4:5], 0.5
	v_fma_f64 v[13:14], -v[4:5], v[6:7], 0.5
	v_fma_f64 v[6:7], v[6:7], v[13:14], v[6:7]
	v_fma_f64 v[4:5], v[4:5], v[13:14], v[4:5]
	v_fma_f64 v[13:14], -v[6:7], v[6:7], v[2:3]
	v_fma_f64 v[6:7], v[13:14], v[4:5], v[6:7]
	v_fma_f64 v[13:14], -v[6:7], v[6:7], v[2:3]
	v_fma_f64 v[4:5], v[13:14], v[4:5], v[6:7]
	v_cndmask_b32_e64 v6, 0, 0xffffff80, vcc_lo
	v_cmp_class_f64_e64 vcc_lo, v[2:3], 0x260
	v_ldexp_f64 v[5:6], v[4:5], v6
	v_mov_b32_e32 v4, 0
	v_cndmask_b32_e32 v3, v6, v3, vcc_lo
	v_cndmask_b32_e32 v2, v5, v2, vcc_lo
	v_mov_b32_e32 v5, v4
	global_store_dwordx4 v[0:1], v[2:5], off
	s_and_b32 exec_lo, exec_lo, s1
	s_cbranch_execz .LBB41_52
; %bb.48:
	s_mov_b32 s2, exec_lo
	s_brev_b32 s1, -2
.LBB41_49:                              ; =>This Inner Loop Header: Depth=1
	s_ff1_i32_b32 s4, s2
	v_readlane_b32 s5, v12, s4
	s_lshl_b32 s4, 1, s4
	s_andn2_b32 s2, s2, s4
	s_min_i32 s1, s1, s5
	s_cmp_lg_u32 s2, 0
	s_cbranch_scc1 .LBB41_49
; %bb.50:
	v_mbcnt_lo_u32_b32 v0, exec_lo, 0
	s_mov_b32 s2, exec_lo
	v_cmpx_eq_u32_e32 0, v0
	s_xor_b32 s2, exec_lo, s2
	s_cbranch_execz .LBB41_52
; %bb.51:
	v_mov_b32_e32 v0, 0
	v_mov_b32_e32 v1, s1
	global_atomic_smin v0, v1, s[12:13]
.LBB41_52:
	s_or_b32 exec_lo, exec_lo, s3
	s_and_b32 exec_lo, exec_lo, s0
	s_cbranch_execz .LBB41_54
; %bb.53:
	v_add_co_u32 v0, vcc_lo, s8, v8
	v_add_co_ci_u32_e64 v1, null, s9, v9, vcc_lo
	v_mov_b32_e32 v2, 1
	s_waitcnt lgkmcnt(0)
	s_waitcnt_vscnt null, 0x0
	global_store_dword v[0:1], v2, off
.LBB41_54:
	s_endpgm
	.section	.rodata,"a",@progbits
	.p2align	6, 0x0
	.amdhsa_kernel _ZN9rocsparseL18csric0_hash_kernelILj256ELj32ELj2E21rocsparse_complex_numIdEEEviPKiS4_PT2_S4_PiS4_S7_S7_d21rocsparse_index_base_
		.amdhsa_group_segment_fixed_size 4096
		.amdhsa_private_segment_fixed_size 0
		.amdhsa_kernarg_size 84
		.amdhsa_user_sgpr_count 6
		.amdhsa_user_sgpr_private_segment_buffer 1
		.amdhsa_user_sgpr_dispatch_ptr 0
		.amdhsa_user_sgpr_queue_ptr 0
		.amdhsa_user_sgpr_kernarg_segment_ptr 1
		.amdhsa_user_sgpr_dispatch_id 0
		.amdhsa_user_sgpr_flat_scratch_init 0
		.amdhsa_user_sgpr_private_segment_size 0
		.amdhsa_wavefront_size32 1
		.amdhsa_uses_dynamic_stack 0
		.amdhsa_system_sgpr_private_segment_wavefront_offset 0
		.amdhsa_system_sgpr_workgroup_id_x 1
		.amdhsa_system_sgpr_workgroup_id_y 0
		.amdhsa_system_sgpr_workgroup_id_z 0
		.amdhsa_system_sgpr_workgroup_info 0
		.amdhsa_system_vgpr_workitem_id 0
		.amdhsa_next_free_vgpr 49
		.amdhsa_next_free_sgpr 30
		.amdhsa_reserve_vcc 1
		.amdhsa_reserve_flat_scratch 0
		.amdhsa_float_round_mode_32 0
		.amdhsa_float_round_mode_16_64 0
		.amdhsa_float_denorm_mode_32 3
		.amdhsa_float_denorm_mode_16_64 3
		.amdhsa_dx10_clamp 1
		.amdhsa_ieee_mode 1
		.amdhsa_fp16_overflow 0
		.amdhsa_workgroup_processor_mode 1
		.amdhsa_memory_ordered 1
		.amdhsa_forward_progress 1
		.amdhsa_shared_vgpr_count 0
		.amdhsa_exception_fp_ieee_invalid_op 0
		.amdhsa_exception_fp_denorm_src 0
		.amdhsa_exception_fp_ieee_div_zero 0
		.amdhsa_exception_fp_ieee_overflow 0
		.amdhsa_exception_fp_ieee_underflow 0
		.amdhsa_exception_fp_ieee_inexact 0
		.amdhsa_exception_int_div_zero 0
	.end_amdhsa_kernel
	.section	.text._ZN9rocsparseL18csric0_hash_kernelILj256ELj32ELj2E21rocsparse_complex_numIdEEEviPKiS4_PT2_S4_PiS4_S7_S7_d21rocsparse_index_base_,"axG",@progbits,_ZN9rocsparseL18csric0_hash_kernelILj256ELj32ELj2E21rocsparse_complex_numIdEEEviPKiS4_PT2_S4_PiS4_S7_S7_d21rocsparse_index_base_,comdat
.Lfunc_end41:
	.size	_ZN9rocsparseL18csric0_hash_kernelILj256ELj32ELj2E21rocsparse_complex_numIdEEEviPKiS4_PT2_S4_PiS4_S7_S7_d21rocsparse_index_base_, .Lfunc_end41-_ZN9rocsparseL18csric0_hash_kernelILj256ELj32ELj2E21rocsparse_complex_numIdEEEviPKiS4_PT2_S4_PiS4_S7_S7_d21rocsparse_index_base_
                                        ; -- End function
	.set _ZN9rocsparseL18csric0_hash_kernelILj256ELj32ELj2E21rocsparse_complex_numIdEEEviPKiS4_PT2_S4_PiS4_S7_S7_d21rocsparse_index_base_.num_vgpr, 49
	.set _ZN9rocsparseL18csric0_hash_kernelILj256ELj32ELj2E21rocsparse_complex_numIdEEEviPKiS4_PT2_S4_PiS4_S7_S7_d21rocsparse_index_base_.num_agpr, 0
	.set _ZN9rocsparseL18csric0_hash_kernelILj256ELj32ELj2E21rocsparse_complex_numIdEEEviPKiS4_PT2_S4_PiS4_S7_S7_d21rocsparse_index_base_.numbered_sgpr, 30
	.set _ZN9rocsparseL18csric0_hash_kernelILj256ELj32ELj2E21rocsparse_complex_numIdEEEviPKiS4_PT2_S4_PiS4_S7_S7_d21rocsparse_index_base_.num_named_barrier, 0
	.set _ZN9rocsparseL18csric0_hash_kernelILj256ELj32ELj2E21rocsparse_complex_numIdEEEviPKiS4_PT2_S4_PiS4_S7_S7_d21rocsparse_index_base_.private_seg_size, 0
	.set _ZN9rocsparseL18csric0_hash_kernelILj256ELj32ELj2E21rocsparse_complex_numIdEEEviPKiS4_PT2_S4_PiS4_S7_S7_d21rocsparse_index_base_.uses_vcc, 1
	.set _ZN9rocsparseL18csric0_hash_kernelILj256ELj32ELj2E21rocsparse_complex_numIdEEEviPKiS4_PT2_S4_PiS4_S7_S7_d21rocsparse_index_base_.uses_flat_scratch, 0
	.set _ZN9rocsparseL18csric0_hash_kernelILj256ELj32ELj2E21rocsparse_complex_numIdEEEviPKiS4_PT2_S4_PiS4_S7_S7_d21rocsparse_index_base_.has_dyn_sized_stack, 0
	.set _ZN9rocsparseL18csric0_hash_kernelILj256ELj32ELj2E21rocsparse_complex_numIdEEEviPKiS4_PT2_S4_PiS4_S7_S7_d21rocsparse_index_base_.has_recursion, 0
	.set _ZN9rocsparseL18csric0_hash_kernelILj256ELj32ELj2E21rocsparse_complex_numIdEEEviPKiS4_PT2_S4_PiS4_S7_S7_d21rocsparse_index_base_.has_indirect_call, 0
	.section	.AMDGPU.csdata,"",@progbits
; Kernel info:
; codeLenInByte = 3228
; TotalNumSgprs: 32
; NumVgprs: 49
; ScratchSize: 0
; MemoryBound: 0
; FloatMode: 240
; IeeeMode: 1
; LDSByteSize: 4096 bytes/workgroup (compile time only)
; SGPRBlocks: 0
; VGPRBlocks: 6
; NumSGPRsForWavesPerEU: 32
; NumVGPRsForWavesPerEU: 49
; Occupancy: 16
; WaveLimiterHint : 1
; COMPUTE_PGM_RSRC2:SCRATCH_EN: 0
; COMPUTE_PGM_RSRC2:USER_SGPR: 6
; COMPUTE_PGM_RSRC2:TRAP_HANDLER: 0
; COMPUTE_PGM_RSRC2:TGID_X_EN: 1
; COMPUTE_PGM_RSRC2:TGID_Y_EN: 0
; COMPUTE_PGM_RSRC2:TGID_Z_EN: 0
; COMPUTE_PGM_RSRC2:TIDIG_COMP_CNT: 0
	.section	.text._ZN9rocsparseL18csric0_hash_kernelILj256ELj32ELj4E21rocsparse_complex_numIdEEEviPKiS4_PT2_S4_PiS4_S7_S7_d21rocsparse_index_base_,"axG",@progbits,_ZN9rocsparseL18csric0_hash_kernelILj256ELj32ELj4E21rocsparse_complex_numIdEEEviPKiS4_PT2_S4_PiS4_S7_S7_d21rocsparse_index_base_,comdat
	.globl	_ZN9rocsparseL18csric0_hash_kernelILj256ELj32ELj4E21rocsparse_complex_numIdEEEviPKiS4_PT2_S4_PiS4_S7_S7_d21rocsparse_index_base_ ; -- Begin function _ZN9rocsparseL18csric0_hash_kernelILj256ELj32ELj4E21rocsparse_complex_numIdEEEviPKiS4_PT2_S4_PiS4_S7_S7_d21rocsparse_index_base_
	.p2align	8
	.type	_ZN9rocsparseL18csric0_hash_kernelILj256ELj32ELj4E21rocsparse_complex_numIdEEEviPKiS4_PT2_S4_PiS4_S7_S7_d21rocsparse_index_base_,@function
_ZN9rocsparseL18csric0_hash_kernelILj256ELj32ELj4E21rocsparse_complex_numIdEEEviPKiS4_PT2_S4_PiS4_S7_S7_d21rocsparse_index_base_: ; @_ZN9rocsparseL18csric0_hash_kernelILj256ELj32ELj4E21rocsparse_complex_numIdEEEviPKiS4_PT2_S4_PiS4_S7_S7_d21rocsparse_index_base_
; %bb.0:
	s_clause 0x1
	s_load_dwordx8 s[16:23], s[4:5], 0x8
	s_load_dwordx8 s[8:15], s[4:5], 0x28
	v_lshrrev_b32_e32 v1, 5, v0
	v_and_b32_e32 v28, 31, v0
	s_mov_b32 s0, 0
	v_lshlrev_b32_e32 v3, 9, v1
	v_lshlrev_b32_e32 v4, 2, v28
	v_or_b32_e32 v2, 0xffffffe0, v28
	v_or3_b32 v3, v3, v4, 0x1000
	v_mov_b32_e32 v4, -1
.LBB42_1:                               ; =>This Inner Loop Header: Depth=1
	v_add_nc_u32_e32 v2, 32, v2
	ds_write_b32 v3, v4
	v_add_nc_u32_e32 v3, 0x80, v3
	v_cmp_lt_u32_e32 vcc_lo, 0x5f, v2
	s_or_b32 s0, vcc_lo, s0
	s_andn2_b32 exec_lo, exec_lo, s0
	s_cbranch_execnz .LBB42_1
; %bb.2:
	s_or_b32 exec_lo, exec_lo, s0
	s_load_dword s0, s[4:5], 0x0
	s_lshl_b32 s1, s6, 3
	s_waitcnt lgkmcnt(0)
	buffer_gl0_inv
	v_and_or_b32 v1, 0x7fffff8, s1, v1
	v_cmp_gt_i32_e32 vcc_lo, s0, v1
	s_and_saveexec_b32 s0, vcc_lo
	s_cbranch_execz .LBB42_54
; %bb.3:
	v_lshlrev_b32_e32 v1, 2, v1
	s_load_dword s2, s[4:5], 0x50
	v_lshlrev_b32_e32 v0, 4, v0
	s_mov_b32 s0, exec_lo
	global_load_dword v10, v1, s[10:11]
	v_and_b32_e32 v29, 0xe00, v0
	v_or_b32_e32 v30, 0x1000, v29
	s_waitcnt vmcnt(0)
	v_ashrrev_i32_e32 v11, 31, v10
	v_lshlrev_b64 v[8:9], 2, v[10:11]
	v_add_co_u32 v1, vcc_lo, s16, v8
	v_add_co_ci_u32_e64 v2, null, s17, v9, vcc_lo
	v_add_co_u32 v3, vcc_lo, s22, v8
	v_add_co_ci_u32_e64 v4, null, s23, v9, vcc_lo
	global_load_dwordx2 v[1:2], v[1:2], off
	global_load_dword v11, v[3:4], off
	s_waitcnt vmcnt(1) lgkmcnt(0)
	v_subrev_nc_u32_e32 v12, s2, v1
	v_subrev_nc_u32_e32 v2, s2, v2
	v_add_nc_u32_e32 v0, v12, v28
	v_cmpx_lt_i32_e64 v0, v2
	s_cbranch_execz .LBB42_13
; %bb.4:
	v_mov_b32_e32 v3, -1
	s_mov_b32 s1, 0
	s_branch .LBB42_6
.LBB42_5:                               ;   in Loop: Header=BB42_6 Depth=1
	s_or_b32 exec_lo, exec_lo, s3
	v_add_nc_u32_e32 v0, 32, v0
	v_cmp_ge_i32_e32 vcc_lo, v0, v2
	s_or_b32 s1, vcc_lo, s1
	s_andn2_b32 exec_lo, exec_lo, s1
	s_cbranch_execz .LBB42_13
.LBB42_6:                               ; =>This Loop Header: Depth=1
                                        ;     Child Loop BB42_9 Depth 2
	v_ashrrev_i32_e32 v1, 31, v0
	s_mov_b32 s3, exec_lo
	v_lshlrev_b64 v[4:5], 2, v[0:1]
	v_add_co_u32 v4, vcc_lo, s18, v4
	v_add_co_ci_u32_e64 v5, null, s19, v5, vcc_lo
	global_load_dword v1, v[4:5], off
	s_waitcnt vmcnt(0)
	v_mul_lo_u32 v4, 0x67, v1
	v_and_b32_e32 v4, 0x7f, v4
	v_lshl_add_u32 v5, v4, 2, v30
	ds_read_b32 v6, v5
	s_waitcnt lgkmcnt(0)
	v_cmpx_ne_u32_e64 v6, v1
	s_cbranch_execz .LBB42_5
; %bb.7:                                ;   in Loop: Header=BB42_6 Depth=1
	s_mov_b32 s6, 0
                                        ; implicit-def: $sgpr7
                                        ; implicit-def: $sgpr11
                                        ; implicit-def: $sgpr10
	s_inst_prefetch 0x1
	s_branch .LBB42_9
	.p2align	6
.LBB42_8:                               ;   in Loop: Header=BB42_9 Depth=2
	s_or_b32 exec_lo, exec_lo, s24
	s_and_b32 s24, exec_lo, s11
	s_or_b32 s6, s24, s6
	s_andn2_b32 s7, s7, exec_lo
	s_and_b32 s24, s10, exec_lo
	s_or_b32 s7, s7, s24
	s_andn2_b32 exec_lo, exec_lo, s6
	s_cbranch_execz .LBB42_11
.LBB42_9:                               ;   Parent Loop BB42_6 Depth=1
                                        ; =>  This Inner Loop Header: Depth=2
	ds_cmpst_rtn_b32 v5, v5, v3, v1
	v_mov_b32_e32 v6, v4
	s_or_b32 s10, s10, exec_lo
	s_or_b32 s11, s11, exec_lo
                                        ; implicit-def: $vgpr4
	s_waitcnt lgkmcnt(0)
	v_cmp_ne_u32_e32 vcc_lo, -1, v5
                                        ; implicit-def: $vgpr5
	s_and_saveexec_b32 s24, vcc_lo
	s_cbranch_execz .LBB42_8
; %bb.10:                               ;   in Loop: Header=BB42_9 Depth=2
	v_add_nc_u32_e32 v4, 1, v6
	s_andn2_b32 s11, s11, exec_lo
	s_andn2_b32 s10, s10, exec_lo
	v_and_b32_e32 v4, 0x7f, v4
	v_lshl_add_u32 v5, v4, 2, v30
	ds_read_b32 v7, v5
	s_waitcnt lgkmcnt(0)
	v_cmp_eq_u32_e32 vcc_lo, v7, v1
	s_and_b32 s25, vcc_lo, exec_lo
	s_or_b32 s11, s11, s25
	s_branch .LBB42_8
.LBB42_11:                              ;   in Loop: Header=BB42_6 Depth=1
	s_inst_prefetch 0x2
	s_or_b32 exec_lo, exec_lo, s6
	s_and_saveexec_b32 s6, s7
	s_xor_b32 s6, exec_lo, s6
	s_cbranch_execz .LBB42_5
; %bb.12:                               ;   in Loop: Header=BB42_6 Depth=1
	v_lshl_add_u32 v1, v6, 2, v29
	ds_write_b32 v1, v0
	s_branch .LBB42_5
.LBB42_13:
	s_or_b32 exec_lo, exec_lo, s0
	v_mov_b32_e32 v14, 0
	v_mov_b32_e32 v16, 0
	;; [unrolled: 1-line block ×4, first 2 shown]
	s_mov_b32 s3, exec_lo
	s_waitcnt vmcnt(0) lgkmcnt(0)
	buffer_gl0_inv
	v_cmpx_lt_i32_e64 v12, v11
	s_cbranch_execz .LBB42_35
; %bb.14:
	v_mbcnt_lo_u32_b32 v31, -1, 0
	v_mov_b32_e32 v14, 0
	v_mov_b32_e32 v16, 0
	v_add_nc_u32_e32 v32, -1, v11
	v_subrev_nc_u32_e32 v33, s2, v28
	v_cmp_eq_u32_e64 s0, 31, v28
	v_mov_b32_e32 v15, 0
	v_xor_b32_e32 v34, 16, v31
	v_xor_b32_e32 v35, 8, v31
	;; [unrolled: 1-line block ×4, first 2 shown]
	v_mov_b32_e32 v17, 0
	v_xor_b32_e32 v38, 1, v31
	s_mov_b32 s6, 0
	s_branch .LBB42_17
.LBB42_15:                              ;   in Loop: Header=BB42_17 Depth=1
	s_or_b32 exec_lo, exec_lo, s7
	v_add_nc_u32_e32 v12, 1, v12
	v_cmp_ge_i32_e32 vcc_lo, v12, v11
	s_orn2_b32 s7, vcc_lo, exec_lo
.LBB42_16:                              ;   in Loop: Header=BB42_17 Depth=1
	s_or_b32 exec_lo, exec_lo, s1
	s_and_b32 s1, exec_lo, s7
	s_or_b32 s6, s1, s6
	s_andn2_b32 exec_lo, exec_lo, s6
	s_cbranch_execz .LBB42_34
.LBB42_17:                              ; =>This Loop Header: Depth=1
                                        ;     Child Loop BB42_18 Depth 2
                                        ;     Child Loop BB42_24 Depth 2
                                        ;       Child Loop BB42_27 Depth 3
	v_ashrrev_i32_e32 v13, 31, v12
	s_mov_b32 s1, 0
	v_lshlrev_b64 v[0:1], 2, v[12:13]
	v_lshlrev_b64 v[2:3], 4, v[12:13]
	v_add_co_u32 v0, vcc_lo, s18, v0
	v_add_co_ci_u32_e64 v1, null, s19, v1, vcc_lo
	v_add_co_u32 v18, vcc_lo, s20, v2
	v_add_co_ci_u32_e64 v19, null, s21, v3, vcc_lo
	global_load_dword v0, v[0:1], off
	s_waitcnt vmcnt(0)
	v_subrev_nc_u32_e32 v0, s2, v0
	v_ashrrev_i32_e32 v1, 31, v0
	v_lshlrev_b64 v[4:5], 2, v[0:1]
	v_add_co_u32 v6, vcc_lo, s16, v4
	v_add_co_ci_u32_e64 v7, null, s17, v5, vcc_lo
	v_add_co_u32 v20, vcc_lo, s22, v4
	v_add_co_ci_u32_e64 v21, null, s23, v5, vcc_lo
	global_load_dwordx4 v[0:3], v[18:19], off
	global_load_dword v13, v[6:7], off
	global_load_dword v6, v[20:21], off
	v_add_co_u32 v4, vcc_lo, s8, v4
	v_add_co_ci_u32_e64 v5, null, s9, v5, vcc_lo
.LBB42_18:                              ;   Parent Loop BB42_17 Depth=1
                                        ; =>  This Inner Loop Header: Depth=2
	global_load_dword v7, v[4:5], off glc dlc
	s_waitcnt vmcnt(0)
	v_cmp_ne_u32_e32 vcc_lo, 0, v7
	s_or_b32 s1, vcc_lo, s1
	s_andn2_b32 exec_lo, exec_lo, s1
	s_cbranch_execnz .LBB42_18
; %bb.19:                               ;   in Loop: Header=BB42_17 Depth=1
	s_or_b32 exec_lo, exec_lo, s1
	v_cmp_eq_u32_e32 vcc_lo, -1, v6
	buffer_gl1_inv
	buffer_gl0_inv
	s_mov_b32 s7, -1
	s_waitcnt lgkmcnt(3)
	v_cndmask_b32_e32 v24, v6, v32, vcc_lo
	s_waitcnt lgkmcnt(2)
	v_ashrrev_i32_e32 v25, 31, v24
	v_lshlrev_b64 v[4:5], 4, v[24:25]
	v_add_co_u32 v4, vcc_lo, s20, v4
	v_add_co_ci_u32_e64 v5, null, s21, v5, vcc_lo
	global_load_dwordx4 v[4:7], v[4:5], off
	s_waitcnt vmcnt(0)
	v_cmp_neq_f64_e32 vcc_lo, 0, v[4:5]
	v_cmp_neq_f64_e64 s1, 0, v[6:7]
	s_or_b32 s10, vcc_lo, s1
	s_and_saveexec_b32 s1, s10
	s_cbranch_execz .LBB42_16
; %bb.20:                               ;   in Loop: Header=BB42_17 Depth=1
	v_mov_b32_e32 v20, 0
	v_mov_b32_e32 v22, 0
	v_add_nc_u32_e32 v25, v33, v13
	v_mov_b32_e32 v21, 0
	v_mov_b32_e32 v23, 0
	s_mov_b32 s7, exec_lo
	v_cmpx_lt_i32_e64 v25, v24
	s_cbranch_execz .LBB42_32
; %bb.21:                               ;   in Loop: Header=BB42_17 Depth=1
	v_mov_b32_e32 v20, 0
	v_mov_b32_e32 v22, 0
	;; [unrolled: 1-line block ×4, first 2 shown]
	s_mov_b32 s10, 0
	s_branch .LBB42_24
.LBB42_22:                              ;   in Loop: Header=BB42_24 Depth=2
	s_or_b32 exec_lo, exec_lo, s24
.LBB42_23:                              ;   in Loop: Header=BB42_24 Depth=2
	s_or_b32 exec_lo, exec_lo, s11
	v_add_nc_u32_e32 v25, 32, v25
	v_cmp_ge_i32_e32 vcc_lo, v25, v24
	s_or_b32 s10, vcc_lo, s10
	s_andn2_b32 exec_lo, exec_lo, s10
	s_cbranch_execz .LBB42_31
.LBB42_24:                              ;   Parent Loop BB42_17 Depth=1
                                        ; =>  This Loop Header: Depth=2
                                        ;       Child Loop BB42_27 Depth 3
	s_waitcnt lgkmcnt(1)
	v_ashrrev_i32_e32 v26, 31, v25
	s_mov_b32 s11, exec_lo
	v_lshlrev_b64 v[39:40], 2, v[25:26]
	v_add_co_u32 v39, vcc_lo, s18, v39
	v_add_co_ci_u32_e64 v40, null, s19, v40, vcc_lo
	global_load_dword v13, v[39:40], off
	s_waitcnt vmcnt(0) lgkmcnt(0)
	v_mul_lo_u32 v27, 0x67, v13
	v_and_b32_e32 v40, 0x7f, v27
	v_lshl_add_u32 v27, v40, 2, v30
	ds_read_b32 v39, v27
	s_waitcnt lgkmcnt(0)
	v_cmpx_ne_u32_e32 -1, v39
	s_cbranch_execz .LBB42_23
; %bb.25:                               ;   in Loop: Header=BB42_24 Depth=2
	s_mov_b32 s25, 0
                                        ; implicit-def: $sgpr24
                                        ; implicit-def: $sgpr27
                                        ; implicit-def: $sgpr26
	s_inst_prefetch 0x1
	s_branch .LBB42_27
	.p2align	6
.LBB42_26:                              ;   in Loop: Header=BB42_27 Depth=3
	s_or_b32 exec_lo, exec_lo, s28
	s_and_b32 s28, exec_lo, s27
	s_or_b32 s25, s28, s25
	s_andn2_b32 s24, s24, exec_lo
	s_and_b32 s28, s26, exec_lo
	s_or_b32 s24, s24, s28
	s_andn2_b32 exec_lo, exec_lo, s25
	s_cbranch_execz .LBB42_29
.LBB42_27:                              ;   Parent Loop BB42_17 Depth=1
                                        ;     Parent Loop BB42_24 Depth=2
                                        ; =>    This Inner Loop Header: Depth=3
	v_mov_b32_e32 v27, v40
	v_cmp_ne_u32_e32 vcc_lo, v39, v13
	s_or_b32 s26, s26, exec_lo
	s_or_b32 s27, s27, exec_lo
                                        ; implicit-def: $vgpr40
                                        ; implicit-def: $vgpr39
	s_and_saveexec_b32 s28, vcc_lo
	s_cbranch_execz .LBB42_26
; %bb.28:                               ;   in Loop: Header=BB42_27 Depth=3
	v_add_nc_u32_e32 v39, 1, v27
	s_andn2_b32 s27, s27, exec_lo
	s_andn2_b32 s26, s26, exec_lo
	v_and_b32_e32 v40, 0x7f, v39
	v_lshl_add_u32 v39, v40, 2, v30
	ds_read_b32 v39, v39
	s_waitcnt lgkmcnt(0)
	v_cmp_eq_u32_e32 vcc_lo, -1, v39
	s_and_b32 s29, vcc_lo, exec_lo
	s_or_b32 s27, s27, s29
	s_branch .LBB42_26
.LBB42_29:                              ;   in Loop: Header=BB42_24 Depth=2
	s_inst_prefetch 0x2
	s_or_b32 exec_lo, exec_lo, s25
	s_and_saveexec_b32 s25, s24
	s_xor_b32 s24, exec_lo, s25
	s_cbranch_execz .LBB42_22
; %bb.30:                               ;   in Loop: Header=BB42_24 Depth=2
	v_lshl_add_u32 v13, v27, 2, v29
	v_lshlrev_b64 v[26:27], 4, v[25:26]
	ds_read_b32 v39, v13
	v_add_co_u32 v26, vcc_lo, s20, v26
	v_add_co_ci_u32_e64 v27, null, s21, v27, vcc_lo
	s_waitcnt lgkmcnt(0)
	v_ashrrev_i32_e32 v40, 31, v39
	v_lshlrev_b64 v[39:40], 4, v[39:40]
	v_add_co_u32 v43, vcc_lo, s20, v39
	v_add_co_ci_u32_e64 v44, null, s21, v40, vcc_lo
	s_clause 0x1
	global_load_dwordx4 v[39:42], v[26:27], off
	global_load_dwordx4 v[43:46], v[43:44], off
	s_waitcnt vmcnt(0)
	v_fma_f64 v[22:23], v[39:40], v[43:44], v[22:23]
	v_fma_f64 v[20:21], v[41:42], v[43:44], v[20:21]
	;; [unrolled: 1-line block ×3, first 2 shown]
	v_fma_f64 v[20:21], v[39:40], -v[45:46], v[20:21]
	s_branch .LBB42_22
.LBB42_31:                              ;   in Loop: Header=BB42_17 Depth=1
	s_or_b32 exec_lo, exec_lo, s10
.LBB42_32:                              ;   in Loop: Header=BB42_17 Depth=1
	s_or_b32 exec_lo, exec_lo, s7
	v_cmp_gt_i32_e32 vcc_lo, 32, v34
	v_cndmask_b32_e32 v13, v31, v34, vcc_lo
	v_cmp_gt_i32_e32 vcc_lo, 32, v35
	v_lshlrev_b32_e32 v13, 2, v13
	ds_bpermute_b32 v24, v13, v22
	ds_bpermute_b32 v25, v13, v23
	s_waitcnt lgkmcnt(3)
	ds_bpermute_b32 v26, v13, v20
	s_waitcnt lgkmcnt(3)
	ds_bpermute_b32 v27, v13, v21
	v_cndmask_b32_e32 v13, v31, v35, vcc_lo
	v_cmp_gt_i32_e32 vcc_lo, 32, v36
	v_lshlrev_b32_e32 v13, 2, v13
	s_waitcnt lgkmcnt(2)
	v_add_f64 v[22:23], v[22:23], v[24:25]
	s_waitcnt lgkmcnt(0)
	v_add_f64 v[20:21], v[20:21], v[26:27]
	ds_bpermute_b32 v24, v13, v22
	ds_bpermute_b32 v25, v13, v23
	ds_bpermute_b32 v26, v13, v20
	ds_bpermute_b32 v27, v13, v21
	v_cndmask_b32_e32 v13, v31, v36, vcc_lo
	v_cmp_gt_i32_e32 vcc_lo, 32, v37
	v_lshlrev_b32_e32 v13, 2, v13
	s_waitcnt lgkmcnt(2)
	v_add_f64 v[22:23], v[22:23], v[24:25]
	s_waitcnt lgkmcnt(0)
	v_add_f64 v[20:21], v[20:21], v[26:27]
	ds_bpermute_b32 v24, v13, v22
	ds_bpermute_b32 v25, v13, v23
	ds_bpermute_b32 v26, v13, v20
	;; [unrolled: 11-line block ×3, first 2 shown]
	ds_bpermute_b32 v27, v13, v25
	v_cndmask_b32_e32 v13, v31, v38, vcc_lo
	v_lshlrev_b32_e32 v13, 2, v13
	s_waitcnt lgkmcnt(2)
	v_add_f64 v[20:21], v[22:23], v[20:21]
	s_waitcnt lgkmcnt(0)
	v_add_f64 v[22:23], v[24:25], v[26:27]
	ds_bpermute_b32 v24, v13, v20
	ds_bpermute_b32 v25, v13, v21
	;; [unrolled: 1-line block ×4, first 2 shown]
	s_and_saveexec_b32 s7, s0
	s_cbranch_execz .LBB42_15
; %bb.33:                               ;   in Loop: Header=BB42_17 Depth=1
	v_mul_f64 v[39:40], v[6:7], v[6:7]
	s_waitcnt lgkmcnt(0)
	v_add_f64 v[22:23], v[22:23], v[26:27]
	v_add_f64 v[20:21], v[20:21], v[24:25]
	v_fma_f64 v[39:40], v[4:5], v[4:5], v[39:40]
	v_add_f64 v[2:3], v[2:3], -v[22:23]
	v_add_f64 v[0:1], v[0:1], -v[20:21]
	v_div_scale_f64 v[41:42], null, v[39:40], v[39:40], 1.0
	v_div_scale_f64 v[47:48], vcc_lo, 1.0, v[39:40], 1.0
	v_rcp_f64_e32 v[43:44], v[41:42]
	v_fma_f64 v[45:46], -v[41:42], v[43:44], 1.0
	v_fma_f64 v[43:44], v[43:44], v[45:46], v[43:44]
	v_fma_f64 v[45:46], -v[41:42], v[43:44], 1.0
	v_fma_f64 v[43:44], v[43:44], v[45:46], v[43:44]
	v_mul_f64 v[45:46], v[47:48], v[43:44]
	v_fma_f64 v[41:42], -v[41:42], v[45:46], v[47:48]
	v_div_fmas_f64 v[41:42], v[41:42], v[43:44], v[45:46]
	v_fma_f64 v[43:44], v[4:5], 0, -v[6:7]
	v_fma_f64 v[4:5], v[6:7], 0, v[4:5]
	v_div_fixup_f64 v[26:27], v[41:42], v[39:40], 1.0
	v_mul_f64 v[6:7], v[43:44], v[26:27]
	v_mul_f64 v[4:5], v[4:5], v[26:27]
	v_mul_f64 v[20:21], v[6:7], -v[2:3]
	v_mul_f64 v[6:7], v[6:7], v[0:1]
	v_fma_f64 v[0:1], v[0:1], v[4:5], v[20:21]
	v_fma_f64 v[2:3], v[2:3], v[4:5], v[6:7]
	;; [unrolled: 1-line block ×4, first 2 shown]
	global_store_dwordx4 v[18:19], v[0:3], off
	v_fma_f64 v[16:17], v[2:3], v[2:3], v[4:5]
	v_fma_f64 v[14:15], v[0:1], -v[2:3], v[6:7]
	s_branch .LBB42_15
.LBB42_34:
	s_or_b32 exec_lo, exec_lo, s6
.LBB42_35:
	s_or_b32 exec_lo, exec_lo, s3
	v_cmp_eq_u32_e64 s0, 31, v28
	v_cmp_lt_i32_e32 vcc_lo, -1, v11
	s_and_b32 s1, s0, vcc_lo
	s_and_saveexec_b32 s3, s1
	s_cbranch_execz .LBB42_52
; %bb.36:
	v_mov_b32_e32 v12, 0
	s_load_dwordx2 s[4:5], s[4:5], 0x48
	v_lshlrev_b64 v[0:1], 4, v[11:12]
	v_add_co_u32 v0, vcc_lo, s20, v0
	v_add_co_ci_u32_e64 v1, null, s21, v1, vcc_lo
	global_load_dwordx4 v[2:5], v[0:1], off
	s_waitcnt lgkmcnt(0)
	v_mul_f64 v[11:12], s[4:5], s[4:5]
	s_waitcnt vmcnt(0)
	v_add_f64 v[2:3], v[2:3], -v[16:17]
	v_add_f64 v[6:7], v[4:5], -v[14:15]
	v_cmp_le_f64_e32 vcc_lo, v[2:3], v[11:12]
	v_cmp_eq_f64_e64 s1, 0, v[6:7]
	v_add_nc_u32_e32 v12, s2, v10
	s_and_b32 s2, vcc_lo, s1
	s_and_saveexec_b32 s1, s2
	s_cbranch_execz .LBB42_41
; %bb.37:
	s_mov_b32 s4, exec_lo
	s_brev_b32 s2, -2
.LBB42_38:                              ; =>This Inner Loop Header: Depth=1
	s_ff1_i32_b32 s5, s4
	v_readlane_b32 s6, v12, s5
	s_lshl_b32 s5, 1, s5
	s_andn2_b32 s4, s4, s5
	s_min_i32 s2, s2, s6
	s_cmp_lg_u32 s4, 0
	s_cbranch_scc1 .LBB42_38
; %bb.39:
	v_mbcnt_lo_u32_b32 v4, exec_lo, 0
	s_mov_b32 s4, exec_lo
	v_cmpx_eq_u32_e32 0, v4
	s_xor_b32 s4, exec_lo, s4
	s_cbranch_execz .LBB42_41
; %bb.40:
	v_mov_b32_e32 v4, 0
	v_mov_b32_e32 v5, s2
	global_atomic_smin v4, v5, s[14:15]
.LBB42_41:
	s_or_b32 exec_lo, exec_lo, s1
	v_cmp_gt_f64_e32 vcc_lo, 0, v[2:3]
	v_xor_b32_e32 v4, 0x80000000, v3
	v_xor_b32_e32 v5, 0x80000000, v7
	s_mov_b32 s1, exec_lo
                                        ; implicit-def: $vgpr10_vgpr11
	v_cndmask_b32_e32 v3, v3, v4, vcc_lo
	v_cmp_gt_f64_e32 vcc_lo, 0, v[6:7]
	v_mov_b32_e32 v4, v6
	v_cndmask_b32_e32 v5, v7, v5, vcc_lo
	v_cmpx_ngt_f64_e32 v[2:3], v[4:5]
	s_xor_b32 s1, exec_lo, s1
	s_cbranch_execz .LBB42_45
; %bb.42:
	v_mov_b32_e32 v10, 0
	v_mov_b32_e32 v11, 0
	s_mov_b32 s2, exec_lo
	v_cmpx_neq_f64_e32 0, v[6:7]
	s_cbranch_execz .LBB42_44
; %bb.43:
	v_div_scale_f64 v[6:7], null, v[4:5], v[4:5], v[2:3]
	v_div_scale_f64 v[15:16], vcc_lo, v[2:3], v[4:5], v[2:3]
	v_rcp_f64_e32 v[10:11], v[6:7]
	v_fma_f64 v[13:14], -v[6:7], v[10:11], 1.0
	v_fma_f64 v[10:11], v[10:11], v[13:14], v[10:11]
	v_fma_f64 v[13:14], -v[6:7], v[10:11], 1.0
	v_fma_f64 v[10:11], v[10:11], v[13:14], v[10:11]
	v_mul_f64 v[13:14], v[15:16], v[10:11]
	v_fma_f64 v[6:7], -v[6:7], v[13:14], v[15:16]
	v_div_fmas_f64 v[6:7], v[6:7], v[10:11], v[13:14]
	v_div_fixup_f64 v[2:3], v[6:7], v[4:5], v[2:3]
	v_fma_f64 v[2:3], v[2:3], v[2:3], 1.0
	v_cmp_gt_f64_e32 vcc_lo, 0x10000000, v[2:3]
	v_cndmask_b32_e64 v6, 0, 0x100, vcc_lo
	v_ldexp_f64 v[2:3], v[2:3], v6
	v_rsq_f64_e32 v[6:7], v[2:3]
	v_mul_f64 v[10:11], v[2:3], v[6:7]
	v_mul_f64 v[6:7], v[6:7], 0.5
	v_fma_f64 v[13:14], -v[6:7], v[10:11], 0.5
	v_fma_f64 v[10:11], v[10:11], v[13:14], v[10:11]
	v_fma_f64 v[6:7], v[6:7], v[13:14], v[6:7]
	v_fma_f64 v[13:14], -v[10:11], v[10:11], v[2:3]
	v_fma_f64 v[10:11], v[13:14], v[6:7], v[10:11]
	v_fma_f64 v[13:14], -v[10:11], v[10:11], v[2:3]
	v_fma_f64 v[6:7], v[13:14], v[6:7], v[10:11]
	v_cndmask_b32_e64 v10, 0, 0xffffff80, vcc_lo
	v_cmp_class_f64_e64 vcc_lo, v[2:3], 0x260
	v_ldexp_f64 v[6:7], v[6:7], v10
	v_cndmask_b32_e32 v3, v7, v3, vcc_lo
	v_cndmask_b32_e32 v2, v6, v2, vcc_lo
	v_mul_f64 v[10:11], v[4:5], v[2:3]
.LBB42_44:
	s_or_b32 exec_lo, exec_lo, s2
                                        ; implicit-def: $vgpr2_vgpr3
                                        ; implicit-def: $vgpr4_vgpr5
.LBB42_45:
	s_andn2_saveexec_b32 s1, s1
	s_cbranch_execz .LBB42_47
; %bb.46:
	v_div_scale_f64 v[6:7], null, v[2:3], v[2:3], v[4:5]
	v_div_scale_f64 v[15:16], vcc_lo, v[4:5], v[2:3], v[4:5]
	v_rcp_f64_e32 v[10:11], v[6:7]
	v_fma_f64 v[13:14], -v[6:7], v[10:11], 1.0
	v_fma_f64 v[10:11], v[10:11], v[13:14], v[10:11]
	v_fma_f64 v[13:14], -v[6:7], v[10:11], 1.0
	v_fma_f64 v[10:11], v[10:11], v[13:14], v[10:11]
	v_mul_f64 v[13:14], v[15:16], v[10:11]
	v_fma_f64 v[6:7], -v[6:7], v[13:14], v[15:16]
	v_div_fmas_f64 v[6:7], v[6:7], v[10:11], v[13:14]
	v_div_fixup_f64 v[4:5], v[6:7], v[2:3], v[4:5]
	v_fma_f64 v[4:5], v[4:5], v[4:5], 1.0
	v_cmp_gt_f64_e32 vcc_lo, 0x10000000, v[4:5]
	v_cndmask_b32_e64 v6, 0, 0x100, vcc_lo
	v_ldexp_f64 v[4:5], v[4:5], v6
	v_rsq_f64_e32 v[6:7], v[4:5]
	v_mul_f64 v[10:11], v[4:5], v[6:7]
	v_mul_f64 v[6:7], v[6:7], 0.5
	v_fma_f64 v[13:14], -v[6:7], v[10:11], 0.5
	v_fma_f64 v[10:11], v[10:11], v[13:14], v[10:11]
	v_fma_f64 v[6:7], v[6:7], v[13:14], v[6:7]
	v_fma_f64 v[13:14], -v[10:11], v[10:11], v[4:5]
	v_fma_f64 v[10:11], v[13:14], v[6:7], v[10:11]
	v_fma_f64 v[13:14], -v[10:11], v[10:11], v[4:5]
	v_fma_f64 v[6:7], v[13:14], v[6:7], v[10:11]
	v_cndmask_b32_e64 v10, 0, 0xffffff80, vcc_lo
	v_cmp_class_f64_e64 vcc_lo, v[4:5], 0x260
	v_ldexp_f64 v[6:7], v[6:7], v10
	v_cndmask_b32_e32 v5, v7, v5, vcc_lo
	v_cndmask_b32_e32 v4, v6, v4, vcc_lo
	v_mul_f64 v[10:11], v[2:3], v[4:5]
.LBB42_47:
	s_or_b32 exec_lo, exec_lo, s1
	v_cmp_gt_f64_e32 vcc_lo, 0x10000000, v[10:11]
	v_cmp_eq_f64_e64 s1, 0, v[10:11]
	v_cndmask_b32_e64 v2, 0, 0x100, vcc_lo
	v_ldexp_f64 v[2:3], v[10:11], v2
	v_rsq_f64_e32 v[4:5], v[2:3]
	v_mul_f64 v[6:7], v[2:3], v[4:5]
	v_mul_f64 v[4:5], v[4:5], 0.5
	v_fma_f64 v[13:14], -v[4:5], v[6:7], 0.5
	v_fma_f64 v[6:7], v[6:7], v[13:14], v[6:7]
	v_fma_f64 v[4:5], v[4:5], v[13:14], v[4:5]
	v_fma_f64 v[13:14], -v[6:7], v[6:7], v[2:3]
	v_fma_f64 v[6:7], v[13:14], v[4:5], v[6:7]
	v_fma_f64 v[13:14], -v[6:7], v[6:7], v[2:3]
	v_fma_f64 v[4:5], v[13:14], v[4:5], v[6:7]
	v_cndmask_b32_e64 v6, 0, 0xffffff80, vcc_lo
	v_cmp_class_f64_e64 vcc_lo, v[2:3], 0x260
	v_ldexp_f64 v[5:6], v[4:5], v6
	v_mov_b32_e32 v4, 0
	v_cndmask_b32_e32 v3, v6, v3, vcc_lo
	v_cndmask_b32_e32 v2, v5, v2, vcc_lo
	v_mov_b32_e32 v5, v4
	global_store_dwordx4 v[0:1], v[2:5], off
	s_and_b32 exec_lo, exec_lo, s1
	s_cbranch_execz .LBB42_52
; %bb.48:
	s_mov_b32 s2, exec_lo
	s_brev_b32 s1, -2
.LBB42_49:                              ; =>This Inner Loop Header: Depth=1
	s_ff1_i32_b32 s4, s2
	v_readlane_b32 s5, v12, s4
	s_lshl_b32 s4, 1, s4
	s_andn2_b32 s2, s2, s4
	s_min_i32 s1, s1, s5
	s_cmp_lg_u32 s2, 0
	s_cbranch_scc1 .LBB42_49
; %bb.50:
	v_mbcnt_lo_u32_b32 v0, exec_lo, 0
	s_mov_b32 s2, exec_lo
	v_cmpx_eq_u32_e32 0, v0
	s_xor_b32 s2, exec_lo, s2
	s_cbranch_execz .LBB42_52
; %bb.51:
	v_mov_b32_e32 v0, 0
	v_mov_b32_e32 v1, s1
	global_atomic_smin v0, v1, s[12:13]
.LBB42_52:
	s_or_b32 exec_lo, exec_lo, s3
	s_and_b32 exec_lo, exec_lo, s0
	s_cbranch_execz .LBB42_54
; %bb.53:
	v_add_co_u32 v0, vcc_lo, s8, v8
	v_add_co_ci_u32_e64 v1, null, s9, v9, vcc_lo
	v_mov_b32_e32 v2, 1
	s_waitcnt lgkmcnt(0)
	s_waitcnt_vscnt null, 0x0
	global_store_dword v[0:1], v2, off
.LBB42_54:
	s_endpgm
	.section	.rodata,"a",@progbits
	.p2align	6, 0x0
	.amdhsa_kernel _ZN9rocsparseL18csric0_hash_kernelILj256ELj32ELj4E21rocsparse_complex_numIdEEEviPKiS4_PT2_S4_PiS4_S7_S7_d21rocsparse_index_base_
		.amdhsa_group_segment_fixed_size 8192
		.amdhsa_private_segment_fixed_size 0
		.amdhsa_kernarg_size 84
		.amdhsa_user_sgpr_count 6
		.amdhsa_user_sgpr_private_segment_buffer 1
		.amdhsa_user_sgpr_dispatch_ptr 0
		.amdhsa_user_sgpr_queue_ptr 0
		.amdhsa_user_sgpr_kernarg_segment_ptr 1
		.amdhsa_user_sgpr_dispatch_id 0
		.amdhsa_user_sgpr_flat_scratch_init 0
		.amdhsa_user_sgpr_private_segment_size 0
		.amdhsa_wavefront_size32 1
		.amdhsa_uses_dynamic_stack 0
		.amdhsa_system_sgpr_private_segment_wavefront_offset 0
		.amdhsa_system_sgpr_workgroup_id_x 1
		.amdhsa_system_sgpr_workgroup_id_y 0
		.amdhsa_system_sgpr_workgroup_id_z 0
		.amdhsa_system_sgpr_workgroup_info 0
		.amdhsa_system_vgpr_workitem_id 0
		.amdhsa_next_free_vgpr 49
		.amdhsa_next_free_sgpr 30
		.amdhsa_reserve_vcc 1
		.amdhsa_reserve_flat_scratch 0
		.amdhsa_float_round_mode_32 0
		.amdhsa_float_round_mode_16_64 0
		.amdhsa_float_denorm_mode_32 3
		.amdhsa_float_denorm_mode_16_64 3
		.amdhsa_dx10_clamp 1
		.amdhsa_ieee_mode 1
		.amdhsa_fp16_overflow 0
		.amdhsa_workgroup_processor_mode 1
		.amdhsa_memory_ordered 1
		.amdhsa_forward_progress 1
		.amdhsa_shared_vgpr_count 0
		.amdhsa_exception_fp_ieee_invalid_op 0
		.amdhsa_exception_fp_denorm_src 0
		.amdhsa_exception_fp_ieee_div_zero 0
		.amdhsa_exception_fp_ieee_overflow 0
		.amdhsa_exception_fp_ieee_underflow 0
		.amdhsa_exception_fp_ieee_inexact 0
		.amdhsa_exception_int_div_zero 0
	.end_amdhsa_kernel
	.section	.text._ZN9rocsparseL18csric0_hash_kernelILj256ELj32ELj4E21rocsparse_complex_numIdEEEviPKiS4_PT2_S4_PiS4_S7_S7_d21rocsparse_index_base_,"axG",@progbits,_ZN9rocsparseL18csric0_hash_kernelILj256ELj32ELj4E21rocsparse_complex_numIdEEEviPKiS4_PT2_S4_PiS4_S7_S7_d21rocsparse_index_base_,comdat
.Lfunc_end42:
	.size	_ZN9rocsparseL18csric0_hash_kernelILj256ELj32ELj4E21rocsparse_complex_numIdEEEviPKiS4_PT2_S4_PiS4_S7_S7_d21rocsparse_index_base_, .Lfunc_end42-_ZN9rocsparseL18csric0_hash_kernelILj256ELj32ELj4E21rocsparse_complex_numIdEEEviPKiS4_PT2_S4_PiS4_S7_S7_d21rocsparse_index_base_
                                        ; -- End function
	.set _ZN9rocsparseL18csric0_hash_kernelILj256ELj32ELj4E21rocsparse_complex_numIdEEEviPKiS4_PT2_S4_PiS4_S7_S7_d21rocsparse_index_base_.num_vgpr, 49
	.set _ZN9rocsparseL18csric0_hash_kernelILj256ELj32ELj4E21rocsparse_complex_numIdEEEviPKiS4_PT2_S4_PiS4_S7_S7_d21rocsparse_index_base_.num_agpr, 0
	.set _ZN9rocsparseL18csric0_hash_kernelILj256ELj32ELj4E21rocsparse_complex_numIdEEEviPKiS4_PT2_S4_PiS4_S7_S7_d21rocsparse_index_base_.numbered_sgpr, 30
	.set _ZN9rocsparseL18csric0_hash_kernelILj256ELj32ELj4E21rocsparse_complex_numIdEEEviPKiS4_PT2_S4_PiS4_S7_S7_d21rocsparse_index_base_.num_named_barrier, 0
	.set _ZN9rocsparseL18csric0_hash_kernelILj256ELj32ELj4E21rocsparse_complex_numIdEEEviPKiS4_PT2_S4_PiS4_S7_S7_d21rocsparse_index_base_.private_seg_size, 0
	.set _ZN9rocsparseL18csric0_hash_kernelILj256ELj32ELj4E21rocsparse_complex_numIdEEEviPKiS4_PT2_S4_PiS4_S7_S7_d21rocsparse_index_base_.uses_vcc, 1
	.set _ZN9rocsparseL18csric0_hash_kernelILj256ELj32ELj4E21rocsparse_complex_numIdEEEviPKiS4_PT2_S4_PiS4_S7_S7_d21rocsparse_index_base_.uses_flat_scratch, 0
	.set _ZN9rocsparseL18csric0_hash_kernelILj256ELj32ELj4E21rocsparse_complex_numIdEEEviPKiS4_PT2_S4_PiS4_S7_S7_d21rocsparse_index_base_.has_dyn_sized_stack, 0
	.set _ZN9rocsparseL18csric0_hash_kernelILj256ELj32ELj4E21rocsparse_complex_numIdEEEviPKiS4_PT2_S4_PiS4_S7_S7_d21rocsparse_index_base_.has_recursion, 0
	.set _ZN9rocsparseL18csric0_hash_kernelILj256ELj32ELj4E21rocsparse_complex_numIdEEEviPKiS4_PT2_S4_PiS4_S7_S7_d21rocsparse_index_base_.has_indirect_call, 0
	.section	.AMDGPU.csdata,"",@progbits
; Kernel info:
; codeLenInByte = 3232
; TotalNumSgprs: 32
; NumVgprs: 49
; ScratchSize: 0
; MemoryBound: 0
; FloatMode: 240
; IeeeMode: 1
; LDSByteSize: 8192 bytes/workgroup (compile time only)
; SGPRBlocks: 0
; VGPRBlocks: 6
; NumSGPRsForWavesPerEU: 32
; NumVGPRsForWavesPerEU: 49
; Occupancy: 16
; WaveLimiterHint : 1
; COMPUTE_PGM_RSRC2:SCRATCH_EN: 0
; COMPUTE_PGM_RSRC2:USER_SGPR: 6
; COMPUTE_PGM_RSRC2:TRAP_HANDLER: 0
; COMPUTE_PGM_RSRC2:TGID_X_EN: 1
; COMPUTE_PGM_RSRC2:TGID_Y_EN: 0
; COMPUTE_PGM_RSRC2:TGID_Z_EN: 0
; COMPUTE_PGM_RSRC2:TIDIG_COMP_CNT: 0
	.section	.text._ZN9rocsparseL18csric0_hash_kernelILj256ELj32ELj8E21rocsparse_complex_numIdEEEviPKiS4_PT2_S4_PiS4_S7_S7_d21rocsparse_index_base_,"axG",@progbits,_ZN9rocsparseL18csric0_hash_kernelILj256ELj32ELj8E21rocsparse_complex_numIdEEEviPKiS4_PT2_S4_PiS4_S7_S7_d21rocsparse_index_base_,comdat
	.globl	_ZN9rocsparseL18csric0_hash_kernelILj256ELj32ELj8E21rocsparse_complex_numIdEEEviPKiS4_PT2_S4_PiS4_S7_S7_d21rocsparse_index_base_ ; -- Begin function _ZN9rocsparseL18csric0_hash_kernelILj256ELj32ELj8E21rocsparse_complex_numIdEEEviPKiS4_PT2_S4_PiS4_S7_S7_d21rocsparse_index_base_
	.p2align	8
	.type	_ZN9rocsparseL18csric0_hash_kernelILj256ELj32ELj8E21rocsparse_complex_numIdEEEviPKiS4_PT2_S4_PiS4_S7_S7_d21rocsparse_index_base_,@function
_ZN9rocsparseL18csric0_hash_kernelILj256ELj32ELj8E21rocsparse_complex_numIdEEEviPKiS4_PT2_S4_PiS4_S7_S7_d21rocsparse_index_base_: ; @_ZN9rocsparseL18csric0_hash_kernelILj256ELj32ELj8E21rocsparse_complex_numIdEEEviPKiS4_PT2_S4_PiS4_S7_S7_d21rocsparse_index_base_
; %bb.0:
	s_clause 0x1
	s_load_dwordx8 s[16:23], s[4:5], 0x8
	s_load_dwordx8 s[8:15], s[4:5], 0x28
	v_lshrrev_b32_e32 v1, 5, v0
	v_and_b32_e32 v28, 31, v0
	s_mov_b32 s0, 0
	v_lshlrev_b32_e32 v3, 10, v1
	v_lshlrev_b32_e32 v4, 2, v28
	v_or_b32_e32 v2, 0xffffffe0, v28
	v_or3_b32 v3, v3, v4, 0x2000
	v_mov_b32_e32 v4, -1
.LBB43_1:                               ; =>This Inner Loop Header: Depth=1
	v_add_nc_u32_e32 v2, 32, v2
	ds_write_b32 v3, v4
	v_add_nc_u32_e32 v3, 0x80, v3
	v_cmp_lt_u32_e32 vcc_lo, 0xdf, v2
	s_or_b32 s0, vcc_lo, s0
	s_andn2_b32 exec_lo, exec_lo, s0
	s_cbranch_execnz .LBB43_1
; %bb.2:
	s_or_b32 exec_lo, exec_lo, s0
	s_load_dword s0, s[4:5], 0x0
	s_lshl_b32 s1, s6, 3
	s_waitcnt lgkmcnt(0)
	buffer_gl0_inv
	v_and_or_b32 v1, 0x7fffff8, s1, v1
	v_cmp_gt_i32_e32 vcc_lo, s0, v1
	s_and_saveexec_b32 s0, vcc_lo
	s_cbranch_execz .LBB43_54
; %bb.3:
	v_lshlrev_b32_e32 v1, 2, v1
	s_load_dword s2, s[4:5], 0x50
	v_lshlrev_b32_e32 v0, 5, v0
	s_mov_b32 s0, exec_lo
	global_load_dword v10, v1, s[10:11]
	v_and_b32_e32 v29, 0x1c00, v0
	v_or_b32_e32 v30, 0x2000, v29
	s_waitcnt vmcnt(0)
	v_ashrrev_i32_e32 v11, 31, v10
	v_lshlrev_b64 v[8:9], 2, v[10:11]
	v_add_co_u32 v1, vcc_lo, s16, v8
	v_add_co_ci_u32_e64 v2, null, s17, v9, vcc_lo
	v_add_co_u32 v3, vcc_lo, s22, v8
	v_add_co_ci_u32_e64 v4, null, s23, v9, vcc_lo
	global_load_dwordx2 v[1:2], v[1:2], off
	global_load_dword v11, v[3:4], off
	s_waitcnt vmcnt(1) lgkmcnt(0)
	v_subrev_nc_u32_e32 v12, s2, v1
	v_subrev_nc_u32_e32 v2, s2, v2
	v_add_nc_u32_e32 v0, v12, v28
	v_cmpx_lt_i32_e64 v0, v2
	s_cbranch_execz .LBB43_13
; %bb.4:
	v_mov_b32_e32 v3, -1
	s_mov_b32 s1, 0
	s_branch .LBB43_6
.LBB43_5:                               ;   in Loop: Header=BB43_6 Depth=1
	s_or_b32 exec_lo, exec_lo, s3
	v_add_nc_u32_e32 v0, 32, v0
	v_cmp_ge_i32_e32 vcc_lo, v0, v2
	s_or_b32 s1, vcc_lo, s1
	s_andn2_b32 exec_lo, exec_lo, s1
	s_cbranch_execz .LBB43_13
.LBB43_6:                               ; =>This Loop Header: Depth=1
                                        ;     Child Loop BB43_9 Depth 2
	v_ashrrev_i32_e32 v1, 31, v0
	s_mov_b32 s3, exec_lo
	v_lshlrev_b64 v[4:5], 2, v[0:1]
	v_add_co_u32 v4, vcc_lo, s18, v4
	v_add_co_ci_u32_e64 v5, null, s19, v5, vcc_lo
	global_load_dword v1, v[4:5], off
	s_waitcnt vmcnt(0)
	v_mul_lo_u32 v4, 0x67, v1
	v_and_b32_e32 v4, 0xff, v4
	v_lshl_add_u32 v5, v4, 2, v30
	ds_read_b32 v6, v5
	s_waitcnt lgkmcnt(0)
	v_cmpx_ne_u32_e64 v6, v1
	s_cbranch_execz .LBB43_5
; %bb.7:                                ;   in Loop: Header=BB43_6 Depth=1
	s_mov_b32 s6, 0
                                        ; implicit-def: $sgpr7
                                        ; implicit-def: $sgpr11
                                        ; implicit-def: $sgpr10
	s_inst_prefetch 0x1
	s_branch .LBB43_9
	.p2align	6
.LBB43_8:                               ;   in Loop: Header=BB43_9 Depth=2
	s_or_b32 exec_lo, exec_lo, s24
	s_and_b32 s24, exec_lo, s11
	s_or_b32 s6, s24, s6
	s_andn2_b32 s7, s7, exec_lo
	s_and_b32 s24, s10, exec_lo
	s_or_b32 s7, s7, s24
	s_andn2_b32 exec_lo, exec_lo, s6
	s_cbranch_execz .LBB43_11
.LBB43_9:                               ;   Parent Loop BB43_6 Depth=1
                                        ; =>  This Inner Loop Header: Depth=2
	ds_cmpst_rtn_b32 v5, v5, v3, v1
	v_mov_b32_e32 v6, v4
	s_or_b32 s10, s10, exec_lo
	s_or_b32 s11, s11, exec_lo
                                        ; implicit-def: $vgpr4
	s_waitcnt lgkmcnt(0)
	v_cmp_ne_u32_e32 vcc_lo, -1, v5
                                        ; implicit-def: $vgpr5
	s_and_saveexec_b32 s24, vcc_lo
	s_cbranch_execz .LBB43_8
; %bb.10:                               ;   in Loop: Header=BB43_9 Depth=2
	v_add_nc_u32_e32 v4, 1, v6
	s_andn2_b32 s11, s11, exec_lo
	s_andn2_b32 s10, s10, exec_lo
	v_and_b32_e32 v4, 0xff, v4
	v_lshl_add_u32 v5, v4, 2, v30
	ds_read_b32 v7, v5
	s_waitcnt lgkmcnt(0)
	v_cmp_eq_u32_e32 vcc_lo, v7, v1
	s_and_b32 s25, vcc_lo, exec_lo
	s_or_b32 s11, s11, s25
	s_branch .LBB43_8
.LBB43_11:                              ;   in Loop: Header=BB43_6 Depth=1
	s_inst_prefetch 0x2
	s_or_b32 exec_lo, exec_lo, s6
	s_and_saveexec_b32 s6, s7
	s_xor_b32 s6, exec_lo, s6
	s_cbranch_execz .LBB43_5
; %bb.12:                               ;   in Loop: Header=BB43_6 Depth=1
	v_lshl_add_u32 v1, v6, 2, v29
	ds_write_b32 v1, v0
	s_branch .LBB43_5
.LBB43_13:
	s_or_b32 exec_lo, exec_lo, s0
	v_mov_b32_e32 v14, 0
	v_mov_b32_e32 v16, 0
	;; [unrolled: 1-line block ×4, first 2 shown]
	s_mov_b32 s3, exec_lo
	s_waitcnt vmcnt(0) lgkmcnt(0)
	buffer_gl0_inv
	v_cmpx_lt_i32_e64 v12, v11
	s_cbranch_execz .LBB43_35
; %bb.14:
	v_mbcnt_lo_u32_b32 v31, -1, 0
	v_mov_b32_e32 v14, 0
	v_mov_b32_e32 v16, 0
	v_add_nc_u32_e32 v32, -1, v11
	v_subrev_nc_u32_e32 v33, s2, v28
	v_cmp_eq_u32_e64 s0, 31, v28
	v_mov_b32_e32 v15, 0
	v_xor_b32_e32 v34, 16, v31
	v_xor_b32_e32 v35, 8, v31
	;; [unrolled: 1-line block ×4, first 2 shown]
	v_mov_b32_e32 v17, 0
	v_xor_b32_e32 v38, 1, v31
	s_mov_b32 s6, 0
	s_branch .LBB43_17
.LBB43_15:                              ;   in Loop: Header=BB43_17 Depth=1
	s_or_b32 exec_lo, exec_lo, s7
	v_add_nc_u32_e32 v12, 1, v12
	v_cmp_ge_i32_e32 vcc_lo, v12, v11
	s_orn2_b32 s7, vcc_lo, exec_lo
.LBB43_16:                              ;   in Loop: Header=BB43_17 Depth=1
	s_or_b32 exec_lo, exec_lo, s1
	s_and_b32 s1, exec_lo, s7
	s_or_b32 s6, s1, s6
	s_andn2_b32 exec_lo, exec_lo, s6
	s_cbranch_execz .LBB43_34
.LBB43_17:                              ; =>This Loop Header: Depth=1
                                        ;     Child Loop BB43_18 Depth 2
                                        ;     Child Loop BB43_24 Depth 2
                                        ;       Child Loop BB43_27 Depth 3
	v_ashrrev_i32_e32 v13, 31, v12
	s_mov_b32 s1, 0
	v_lshlrev_b64 v[0:1], 2, v[12:13]
	v_lshlrev_b64 v[2:3], 4, v[12:13]
	v_add_co_u32 v0, vcc_lo, s18, v0
	v_add_co_ci_u32_e64 v1, null, s19, v1, vcc_lo
	v_add_co_u32 v18, vcc_lo, s20, v2
	v_add_co_ci_u32_e64 v19, null, s21, v3, vcc_lo
	global_load_dword v0, v[0:1], off
	s_waitcnt vmcnt(0)
	v_subrev_nc_u32_e32 v0, s2, v0
	v_ashrrev_i32_e32 v1, 31, v0
	v_lshlrev_b64 v[4:5], 2, v[0:1]
	v_add_co_u32 v6, vcc_lo, s16, v4
	v_add_co_ci_u32_e64 v7, null, s17, v5, vcc_lo
	v_add_co_u32 v20, vcc_lo, s22, v4
	v_add_co_ci_u32_e64 v21, null, s23, v5, vcc_lo
	global_load_dwordx4 v[0:3], v[18:19], off
	global_load_dword v13, v[6:7], off
	global_load_dword v6, v[20:21], off
	v_add_co_u32 v4, vcc_lo, s8, v4
	v_add_co_ci_u32_e64 v5, null, s9, v5, vcc_lo
.LBB43_18:                              ;   Parent Loop BB43_17 Depth=1
                                        ; =>  This Inner Loop Header: Depth=2
	global_load_dword v7, v[4:5], off glc dlc
	s_waitcnt vmcnt(0)
	v_cmp_ne_u32_e32 vcc_lo, 0, v7
	s_or_b32 s1, vcc_lo, s1
	s_andn2_b32 exec_lo, exec_lo, s1
	s_cbranch_execnz .LBB43_18
; %bb.19:                               ;   in Loop: Header=BB43_17 Depth=1
	s_or_b32 exec_lo, exec_lo, s1
	v_cmp_eq_u32_e32 vcc_lo, -1, v6
	buffer_gl1_inv
	buffer_gl0_inv
	s_mov_b32 s7, -1
	s_waitcnt lgkmcnt(3)
	v_cndmask_b32_e32 v24, v6, v32, vcc_lo
	s_waitcnt lgkmcnt(2)
	v_ashrrev_i32_e32 v25, 31, v24
	v_lshlrev_b64 v[4:5], 4, v[24:25]
	v_add_co_u32 v4, vcc_lo, s20, v4
	v_add_co_ci_u32_e64 v5, null, s21, v5, vcc_lo
	global_load_dwordx4 v[4:7], v[4:5], off
	s_waitcnt vmcnt(0)
	v_cmp_neq_f64_e32 vcc_lo, 0, v[4:5]
	v_cmp_neq_f64_e64 s1, 0, v[6:7]
	s_or_b32 s10, vcc_lo, s1
	s_and_saveexec_b32 s1, s10
	s_cbranch_execz .LBB43_16
; %bb.20:                               ;   in Loop: Header=BB43_17 Depth=1
	v_mov_b32_e32 v20, 0
	v_mov_b32_e32 v22, 0
	v_add_nc_u32_e32 v25, v33, v13
	v_mov_b32_e32 v21, 0
	v_mov_b32_e32 v23, 0
	s_mov_b32 s7, exec_lo
	v_cmpx_lt_i32_e64 v25, v24
	s_cbranch_execz .LBB43_32
; %bb.21:                               ;   in Loop: Header=BB43_17 Depth=1
	v_mov_b32_e32 v20, 0
	v_mov_b32_e32 v22, 0
	;; [unrolled: 1-line block ×4, first 2 shown]
	s_mov_b32 s10, 0
	s_branch .LBB43_24
.LBB43_22:                              ;   in Loop: Header=BB43_24 Depth=2
	s_or_b32 exec_lo, exec_lo, s24
.LBB43_23:                              ;   in Loop: Header=BB43_24 Depth=2
	s_or_b32 exec_lo, exec_lo, s11
	v_add_nc_u32_e32 v25, 32, v25
	v_cmp_ge_i32_e32 vcc_lo, v25, v24
	s_or_b32 s10, vcc_lo, s10
	s_andn2_b32 exec_lo, exec_lo, s10
	s_cbranch_execz .LBB43_31
.LBB43_24:                              ;   Parent Loop BB43_17 Depth=1
                                        ; =>  This Loop Header: Depth=2
                                        ;       Child Loop BB43_27 Depth 3
	s_waitcnt lgkmcnt(1)
	v_ashrrev_i32_e32 v26, 31, v25
	s_mov_b32 s11, exec_lo
	v_lshlrev_b64 v[39:40], 2, v[25:26]
	v_add_co_u32 v39, vcc_lo, s18, v39
	v_add_co_ci_u32_e64 v40, null, s19, v40, vcc_lo
	global_load_dword v13, v[39:40], off
	s_waitcnt vmcnt(0) lgkmcnt(0)
	v_mul_lo_u32 v27, 0x67, v13
	v_and_b32_e32 v40, 0xff, v27
	v_lshl_add_u32 v27, v40, 2, v30
	ds_read_b32 v39, v27
	s_waitcnt lgkmcnt(0)
	v_cmpx_ne_u32_e32 -1, v39
	s_cbranch_execz .LBB43_23
; %bb.25:                               ;   in Loop: Header=BB43_24 Depth=2
	s_mov_b32 s25, 0
                                        ; implicit-def: $sgpr24
                                        ; implicit-def: $sgpr27
                                        ; implicit-def: $sgpr26
	s_inst_prefetch 0x1
	s_branch .LBB43_27
	.p2align	6
.LBB43_26:                              ;   in Loop: Header=BB43_27 Depth=3
	s_or_b32 exec_lo, exec_lo, s28
	s_and_b32 s28, exec_lo, s27
	s_or_b32 s25, s28, s25
	s_andn2_b32 s24, s24, exec_lo
	s_and_b32 s28, s26, exec_lo
	s_or_b32 s24, s24, s28
	s_andn2_b32 exec_lo, exec_lo, s25
	s_cbranch_execz .LBB43_29
.LBB43_27:                              ;   Parent Loop BB43_17 Depth=1
                                        ;     Parent Loop BB43_24 Depth=2
                                        ; =>    This Inner Loop Header: Depth=3
	v_mov_b32_e32 v27, v40
	v_cmp_ne_u32_e32 vcc_lo, v39, v13
	s_or_b32 s26, s26, exec_lo
	s_or_b32 s27, s27, exec_lo
                                        ; implicit-def: $vgpr40
                                        ; implicit-def: $vgpr39
	s_and_saveexec_b32 s28, vcc_lo
	s_cbranch_execz .LBB43_26
; %bb.28:                               ;   in Loop: Header=BB43_27 Depth=3
	v_add_nc_u32_e32 v39, 1, v27
	s_andn2_b32 s27, s27, exec_lo
	s_andn2_b32 s26, s26, exec_lo
	v_and_b32_e32 v40, 0xff, v39
	v_lshl_add_u32 v39, v40, 2, v30
	ds_read_b32 v39, v39
	s_waitcnt lgkmcnt(0)
	v_cmp_eq_u32_e32 vcc_lo, -1, v39
	s_and_b32 s29, vcc_lo, exec_lo
	s_or_b32 s27, s27, s29
	s_branch .LBB43_26
.LBB43_29:                              ;   in Loop: Header=BB43_24 Depth=2
	s_inst_prefetch 0x2
	s_or_b32 exec_lo, exec_lo, s25
	s_and_saveexec_b32 s25, s24
	s_xor_b32 s24, exec_lo, s25
	s_cbranch_execz .LBB43_22
; %bb.30:                               ;   in Loop: Header=BB43_24 Depth=2
	v_lshl_add_u32 v13, v27, 2, v29
	v_lshlrev_b64 v[26:27], 4, v[25:26]
	ds_read_b32 v39, v13
	v_add_co_u32 v26, vcc_lo, s20, v26
	v_add_co_ci_u32_e64 v27, null, s21, v27, vcc_lo
	s_waitcnt lgkmcnt(0)
	v_ashrrev_i32_e32 v40, 31, v39
	v_lshlrev_b64 v[39:40], 4, v[39:40]
	v_add_co_u32 v43, vcc_lo, s20, v39
	v_add_co_ci_u32_e64 v44, null, s21, v40, vcc_lo
	s_clause 0x1
	global_load_dwordx4 v[39:42], v[26:27], off
	global_load_dwordx4 v[43:46], v[43:44], off
	s_waitcnt vmcnt(0)
	v_fma_f64 v[22:23], v[39:40], v[43:44], v[22:23]
	v_fma_f64 v[20:21], v[41:42], v[43:44], v[20:21]
	;; [unrolled: 1-line block ×3, first 2 shown]
	v_fma_f64 v[20:21], v[39:40], -v[45:46], v[20:21]
	s_branch .LBB43_22
.LBB43_31:                              ;   in Loop: Header=BB43_17 Depth=1
	s_or_b32 exec_lo, exec_lo, s10
.LBB43_32:                              ;   in Loop: Header=BB43_17 Depth=1
	s_or_b32 exec_lo, exec_lo, s7
	v_cmp_gt_i32_e32 vcc_lo, 32, v34
	v_cndmask_b32_e32 v13, v31, v34, vcc_lo
	v_cmp_gt_i32_e32 vcc_lo, 32, v35
	v_lshlrev_b32_e32 v13, 2, v13
	ds_bpermute_b32 v24, v13, v22
	ds_bpermute_b32 v25, v13, v23
	s_waitcnt lgkmcnt(3)
	ds_bpermute_b32 v26, v13, v20
	s_waitcnt lgkmcnt(3)
	ds_bpermute_b32 v27, v13, v21
	v_cndmask_b32_e32 v13, v31, v35, vcc_lo
	v_cmp_gt_i32_e32 vcc_lo, 32, v36
	v_lshlrev_b32_e32 v13, 2, v13
	s_waitcnt lgkmcnt(2)
	v_add_f64 v[22:23], v[22:23], v[24:25]
	s_waitcnt lgkmcnt(0)
	v_add_f64 v[20:21], v[20:21], v[26:27]
	ds_bpermute_b32 v24, v13, v22
	ds_bpermute_b32 v25, v13, v23
	ds_bpermute_b32 v26, v13, v20
	ds_bpermute_b32 v27, v13, v21
	v_cndmask_b32_e32 v13, v31, v36, vcc_lo
	v_cmp_gt_i32_e32 vcc_lo, 32, v37
	v_lshlrev_b32_e32 v13, 2, v13
	s_waitcnt lgkmcnt(2)
	v_add_f64 v[22:23], v[22:23], v[24:25]
	s_waitcnt lgkmcnt(0)
	v_add_f64 v[20:21], v[20:21], v[26:27]
	ds_bpermute_b32 v24, v13, v22
	ds_bpermute_b32 v25, v13, v23
	ds_bpermute_b32 v26, v13, v20
	;; [unrolled: 11-line block ×3, first 2 shown]
	ds_bpermute_b32 v27, v13, v25
	v_cndmask_b32_e32 v13, v31, v38, vcc_lo
	v_lshlrev_b32_e32 v13, 2, v13
	s_waitcnt lgkmcnt(2)
	v_add_f64 v[20:21], v[22:23], v[20:21]
	s_waitcnt lgkmcnt(0)
	v_add_f64 v[22:23], v[24:25], v[26:27]
	ds_bpermute_b32 v24, v13, v20
	ds_bpermute_b32 v25, v13, v21
	;; [unrolled: 1-line block ×4, first 2 shown]
	s_and_saveexec_b32 s7, s0
	s_cbranch_execz .LBB43_15
; %bb.33:                               ;   in Loop: Header=BB43_17 Depth=1
	v_mul_f64 v[39:40], v[6:7], v[6:7]
	s_waitcnt lgkmcnt(0)
	v_add_f64 v[22:23], v[22:23], v[26:27]
	v_add_f64 v[20:21], v[20:21], v[24:25]
	v_fma_f64 v[39:40], v[4:5], v[4:5], v[39:40]
	v_add_f64 v[2:3], v[2:3], -v[22:23]
	v_add_f64 v[0:1], v[0:1], -v[20:21]
	v_div_scale_f64 v[41:42], null, v[39:40], v[39:40], 1.0
	v_div_scale_f64 v[47:48], vcc_lo, 1.0, v[39:40], 1.0
	v_rcp_f64_e32 v[43:44], v[41:42]
	v_fma_f64 v[45:46], -v[41:42], v[43:44], 1.0
	v_fma_f64 v[43:44], v[43:44], v[45:46], v[43:44]
	v_fma_f64 v[45:46], -v[41:42], v[43:44], 1.0
	v_fma_f64 v[43:44], v[43:44], v[45:46], v[43:44]
	v_mul_f64 v[45:46], v[47:48], v[43:44]
	v_fma_f64 v[41:42], -v[41:42], v[45:46], v[47:48]
	v_div_fmas_f64 v[41:42], v[41:42], v[43:44], v[45:46]
	v_fma_f64 v[43:44], v[4:5], 0, -v[6:7]
	v_fma_f64 v[4:5], v[6:7], 0, v[4:5]
	v_div_fixup_f64 v[26:27], v[41:42], v[39:40], 1.0
	v_mul_f64 v[6:7], v[43:44], v[26:27]
	v_mul_f64 v[4:5], v[4:5], v[26:27]
	v_mul_f64 v[20:21], v[6:7], -v[2:3]
	v_mul_f64 v[6:7], v[6:7], v[0:1]
	v_fma_f64 v[0:1], v[0:1], v[4:5], v[20:21]
	v_fma_f64 v[2:3], v[2:3], v[4:5], v[6:7]
	;; [unrolled: 1-line block ×4, first 2 shown]
	global_store_dwordx4 v[18:19], v[0:3], off
	v_fma_f64 v[16:17], v[2:3], v[2:3], v[4:5]
	v_fma_f64 v[14:15], v[0:1], -v[2:3], v[6:7]
	s_branch .LBB43_15
.LBB43_34:
	s_or_b32 exec_lo, exec_lo, s6
.LBB43_35:
	s_or_b32 exec_lo, exec_lo, s3
	v_cmp_eq_u32_e64 s0, 31, v28
	v_cmp_lt_i32_e32 vcc_lo, -1, v11
	s_and_b32 s1, s0, vcc_lo
	s_and_saveexec_b32 s3, s1
	s_cbranch_execz .LBB43_52
; %bb.36:
	v_mov_b32_e32 v12, 0
	s_load_dwordx2 s[4:5], s[4:5], 0x48
	v_lshlrev_b64 v[0:1], 4, v[11:12]
	v_add_co_u32 v0, vcc_lo, s20, v0
	v_add_co_ci_u32_e64 v1, null, s21, v1, vcc_lo
	global_load_dwordx4 v[2:5], v[0:1], off
	s_waitcnt lgkmcnt(0)
	v_mul_f64 v[11:12], s[4:5], s[4:5]
	s_waitcnt vmcnt(0)
	v_add_f64 v[2:3], v[2:3], -v[16:17]
	v_add_f64 v[6:7], v[4:5], -v[14:15]
	v_cmp_le_f64_e32 vcc_lo, v[2:3], v[11:12]
	v_cmp_eq_f64_e64 s1, 0, v[6:7]
	v_add_nc_u32_e32 v12, s2, v10
	s_and_b32 s2, vcc_lo, s1
	s_and_saveexec_b32 s1, s2
	s_cbranch_execz .LBB43_41
; %bb.37:
	s_mov_b32 s4, exec_lo
	s_brev_b32 s2, -2
.LBB43_38:                              ; =>This Inner Loop Header: Depth=1
	s_ff1_i32_b32 s5, s4
	v_readlane_b32 s6, v12, s5
	s_lshl_b32 s5, 1, s5
	s_andn2_b32 s4, s4, s5
	s_min_i32 s2, s2, s6
	s_cmp_lg_u32 s4, 0
	s_cbranch_scc1 .LBB43_38
; %bb.39:
	v_mbcnt_lo_u32_b32 v4, exec_lo, 0
	s_mov_b32 s4, exec_lo
	v_cmpx_eq_u32_e32 0, v4
	s_xor_b32 s4, exec_lo, s4
	s_cbranch_execz .LBB43_41
; %bb.40:
	v_mov_b32_e32 v4, 0
	v_mov_b32_e32 v5, s2
	global_atomic_smin v4, v5, s[14:15]
.LBB43_41:
	s_or_b32 exec_lo, exec_lo, s1
	v_cmp_gt_f64_e32 vcc_lo, 0, v[2:3]
	v_xor_b32_e32 v4, 0x80000000, v3
	v_xor_b32_e32 v5, 0x80000000, v7
	s_mov_b32 s1, exec_lo
                                        ; implicit-def: $vgpr10_vgpr11
	v_cndmask_b32_e32 v3, v3, v4, vcc_lo
	v_cmp_gt_f64_e32 vcc_lo, 0, v[6:7]
	v_mov_b32_e32 v4, v6
	v_cndmask_b32_e32 v5, v7, v5, vcc_lo
	v_cmpx_ngt_f64_e32 v[2:3], v[4:5]
	s_xor_b32 s1, exec_lo, s1
	s_cbranch_execz .LBB43_45
; %bb.42:
	v_mov_b32_e32 v10, 0
	v_mov_b32_e32 v11, 0
	s_mov_b32 s2, exec_lo
	v_cmpx_neq_f64_e32 0, v[6:7]
	s_cbranch_execz .LBB43_44
; %bb.43:
	v_div_scale_f64 v[6:7], null, v[4:5], v[4:5], v[2:3]
	v_div_scale_f64 v[15:16], vcc_lo, v[2:3], v[4:5], v[2:3]
	v_rcp_f64_e32 v[10:11], v[6:7]
	v_fma_f64 v[13:14], -v[6:7], v[10:11], 1.0
	v_fma_f64 v[10:11], v[10:11], v[13:14], v[10:11]
	v_fma_f64 v[13:14], -v[6:7], v[10:11], 1.0
	v_fma_f64 v[10:11], v[10:11], v[13:14], v[10:11]
	v_mul_f64 v[13:14], v[15:16], v[10:11]
	v_fma_f64 v[6:7], -v[6:7], v[13:14], v[15:16]
	v_div_fmas_f64 v[6:7], v[6:7], v[10:11], v[13:14]
	v_div_fixup_f64 v[2:3], v[6:7], v[4:5], v[2:3]
	v_fma_f64 v[2:3], v[2:3], v[2:3], 1.0
	v_cmp_gt_f64_e32 vcc_lo, 0x10000000, v[2:3]
	v_cndmask_b32_e64 v6, 0, 0x100, vcc_lo
	v_ldexp_f64 v[2:3], v[2:3], v6
	v_rsq_f64_e32 v[6:7], v[2:3]
	v_mul_f64 v[10:11], v[2:3], v[6:7]
	v_mul_f64 v[6:7], v[6:7], 0.5
	v_fma_f64 v[13:14], -v[6:7], v[10:11], 0.5
	v_fma_f64 v[10:11], v[10:11], v[13:14], v[10:11]
	v_fma_f64 v[6:7], v[6:7], v[13:14], v[6:7]
	v_fma_f64 v[13:14], -v[10:11], v[10:11], v[2:3]
	v_fma_f64 v[10:11], v[13:14], v[6:7], v[10:11]
	v_fma_f64 v[13:14], -v[10:11], v[10:11], v[2:3]
	v_fma_f64 v[6:7], v[13:14], v[6:7], v[10:11]
	v_cndmask_b32_e64 v10, 0, 0xffffff80, vcc_lo
	v_cmp_class_f64_e64 vcc_lo, v[2:3], 0x260
	v_ldexp_f64 v[6:7], v[6:7], v10
	v_cndmask_b32_e32 v3, v7, v3, vcc_lo
	v_cndmask_b32_e32 v2, v6, v2, vcc_lo
	v_mul_f64 v[10:11], v[4:5], v[2:3]
.LBB43_44:
	s_or_b32 exec_lo, exec_lo, s2
                                        ; implicit-def: $vgpr2_vgpr3
                                        ; implicit-def: $vgpr4_vgpr5
.LBB43_45:
	s_andn2_saveexec_b32 s1, s1
	s_cbranch_execz .LBB43_47
; %bb.46:
	v_div_scale_f64 v[6:7], null, v[2:3], v[2:3], v[4:5]
	v_div_scale_f64 v[15:16], vcc_lo, v[4:5], v[2:3], v[4:5]
	v_rcp_f64_e32 v[10:11], v[6:7]
	v_fma_f64 v[13:14], -v[6:7], v[10:11], 1.0
	v_fma_f64 v[10:11], v[10:11], v[13:14], v[10:11]
	v_fma_f64 v[13:14], -v[6:7], v[10:11], 1.0
	v_fma_f64 v[10:11], v[10:11], v[13:14], v[10:11]
	v_mul_f64 v[13:14], v[15:16], v[10:11]
	v_fma_f64 v[6:7], -v[6:7], v[13:14], v[15:16]
	v_div_fmas_f64 v[6:7], v[6:7], v[10:11], v[13:14]
	v_div_fixup_f64 v[4:5], v[6:7], v[2:3], v[4:5]
	v_fma_f64 v[4:5], v[4:5], v[4:5], 1.0
	v_cmp_gt_f64_e32 vcc_lo, 0x10000000, v[4:5]
	v_cndmask_b32_e64 v6, 0, 0x100, vcc_lo
	v_ldexp_f64 v[4:5], v[4:5], v6
	v_rsq_f64_e32 v[6:7], v[4:5]
	v_mul_f64 v[10:11], v[4:5], v[6:7]
	v_mul_f64 v[6:7], v[6:7], 0.5
	v_fma_f64 v[13:14], -v[6:7], v[10:11], 0.5
	v_fma_f64 v[10:11], v[10:11], v[13:14], v[10:11]
	v_fma_f64 v[6:7], v[6:7], v[13:14], v[6:7]
	v_fma_f64 v[13:14], -v[10:11], v[10:11], v[4:5]
	v_fma_f64 v[10:11], v[13:14], v[6:7], v[10:11]
	v_fma_f64 v[13:14], -v[10:11], v[10:11], v[4:5]
	v_fma_f64 v[6:7], v[13:14], v[6:7], v[10:11]
	v_cndmask_b32_e64 v10, 0, 0xffffff80, vcc_lo
	v_cmp_class_f64_e64 vcc_lo, v[4:5], 0x260
	v_ldexp_f64 v[6:7], v[6:7], v10
	v_cndmask_b32_e32 v5, v7, v5, vcc_lo
	v_cndmask_b32_e32 v4, v6, v4, vcc_lo
	v_mul_f64 v[10:11], v[2:3], v[4:5]
.LBB43_47:
	s_or_b32 exec_lo, exec_lo, s1
	v_cmp_gt_f64_e32 vcc_lo, 0x10000000, v[10:11]
	v_cmp_eq_f64_e64 s1, 0, v[10:11]
	v_cndmask_b32_e64 v2, 0, 0x100, vcc_lo
	v_ldexp_f64 v[2:3], v[10:11], v2
	v_rsq_f64_e32 v[4:5], v[2:3]
	v_mul_f64 v[6:7], v[2:3], v[4:5]
	v_mul_f64 v[4:5], v[4:5], 0.5
	v_fma_f64 v[13:14], -v[4:5], v[6:7], 0.5
	v_fma_f64 v[6:7], v[6:7], v[13:14], v[6:7]
	v_fma_f64 v[4:5], v[4:5], v[13:14], v[4:5]
	v_fma_f64 v[13:14], -v[6:7], v[6:7], v[2:3]
	v_fma_f64 v[6:7], v[13:14], v[4:5], v[6:7]
	v_fma_f64 v[13:14], -v[6:7], v[6:7], v[2:3]
	v_fma_f64 v[4:5], v[13:14], v[4:5], v[6:7]
	v_cndmask_b32_e64 v6, 0, 0xffffff80, vcc_lo
	v_cmp_class_f64_e64 vcc_lo, v[2:3], 0x260
	v_ldexp_f64 v[5:6], v[4:5], v6
	v_mov_b32_e32 v4, 0
	v_cndmask_b32_e32 v3, v6, v3, vcc_lo
	v_cndmask_b32_e32 v2, v5, v2, vcc_lo
	v_mov_b32_e32 v5, v4
	global_store_dwordx4 v[0:1], v[2:5], off
	s_and_b32 exec_lo, exec_lo, s1
	s_cbranch_execz .LBB43_52
; %bb.48:
	s_mov_b32 s2, exec_lo
	s_brev_b32 s1, -2
.LBB43_49:                              ; =>This Inner Loop Header: Depth=1
	s_ff1_i32_b32 s4, s2
	v_readlane_b32 s5, v12, s4
	s_lshl_b32 s4, 1, s4
	s_andn2_b32 s2, s2, s4
	s_min_i32 s1, s1, s5
	s_cmp_lg_u32 s2, 0
	s_cbranch_scc1 .LBB43_49
; %bb.50:
	v_mbcnt_lo_u32_b32 v0, exec_lo, 0
	s_mov_b32 s2, exec_lo
	v_cmpx_eq_u32_e32 0, v0
	s_xor_b32 s2, exec_lo, s2
	s_cbranch_execz .LBB43_52
; %bb.51:
	v_mov_b32_e32 v0, 0
	v_mov_b32_e32 v1, s1
	global_atomic_smin v0, v1, s[12:13]
.LBB43_52:
	s_or_b32 exec_lo, exec_lo, s3
	s_and_b32 exec_lo, exec_lo, s0
	s_cbranch_execz .LBB43_54
; %bb.53:
	v_add_co_u32 v0, vcc_lo, s8, v8
	v_add_co_ci_u32_e64 v1, null, s9, v9, vcc_lo
	v_mov_b32_e32 v2, 1
	s_waitcnt lgkmcnt(0)
	s_waitcnt_vscnt null, 0x0
	global_store_dword v[0:1], v2, off
.LBB43_54:
	s_endpgm
	.section	.rodata,"a",@progbits
	.p2align	6, 0x0
	.amdhsa_kernel _ZN9rocsparseL18csric0_hash_kernelILj256ELj32ELj8E21rocsparse_complex_numIdEEEviPKiS4_PT2_S4_PiS4_S7_S7_d21rocsparse_index_base_
		.amdhsa_group_segment_fixed_size 16384
		.amdhsa_private_segment_fixed_size 0
		.amdhsa_kernarg_size 84
		.amdhsa_user_sgpr_count 6
		.amdhsa_user_sgpr_private_segment_buffer 1
		.amdhsa_user_sgpr_dispatch_ptr 0
		.amdhsa_user_sgpr_queue_ptr 0
		.amdhsa_user_sgpr_kernarg_segment_ptr 1
		.amdhsa_user_sgpr_dispatch_id 0
		.amdhsa_user_sgpr_flat_scratch_init 0
		.amdhsa_user_sgpr_private_segment_size 0
		.amdhsa_wavefront_size32 1
		.amdhsa_uses_dynamic_stack 0
		.amdhsa_system_sgpr_private_segment_wavefront_offset 0
		.amdhsa_system_sgpr_workgroup_id_x 1
		.amdhsa_system_sgpr_workgroup_id_y 0
		.amdhsa_system_sgpr_workgroup_id_z 0
		.amdhsa_system_sgpr_workgroup_info 0
		.amdhsa_system_vgpr_workitem_id 0
		.amdhsa_next_free_vgpr 49
		.amdhsa_next_free_sgpr 30
		.amdhsa_reserve_vcc 1
		.amdhsa_reserve_flat_scratch 0
		.amdhsa_float_round_mode_32 0
		.amdhsa_float_round_mode_16_64 0
		.amdhsa_float_denorm_mode_32 3
		.amdhsa_float_denorm_mode_16_64 3
		.amdhsa_dx10_clamp 1
		.amdhsa_ieee_mode 1
		.amdhsa_fp16_overflow 0
		.amdhsa_workgroup_processor_mode 1
		.amdhsa_memory_ordered 1
		.amdhsa_forward_progress 1
		.amdhsa_shared_vgpr_count 0
		.amdhsa_exception_fp_ieee_invalid_op 0
		.amdhsa_exception_fp_denorm_src 0
		.amdhsa_exception_fp_ieee_div_zero 0
		.amdhsa_exception_fp_ieee_overflow 0
		.amdhsa_exception_fp_ieee_underflow 0
		.amdhsa_exception_fp_ieee_inexact 0
		.amdhsa_exception_int_div_zero 0
	.end_amdhsa_kernel
	.section	.text._ZN9rocsparseL18csric0_hash_kernelILj256ELj32ELj8E21rocsparse_complex_numIdEEEviPKiS4_PT2_S4_PiS4_S7_S7_d21rocsparse_index_base_,"axG",@progbits,_ZN9rocsparseL18csric0_hash_kernelILj256ELj32ELj8E21rocsparse_complex_numIdEEEviPKiS4_PT2_S4_PiS4_S7_S7_d21rocsparse_index_base_,comdat
.Lfunc_end43:
	.size	_ZN9rocsparseL18csric0_hash_kernelILj256ELj32ELj8E21rocsparse_complex_numIdEEEviPKiS4_PT2_S4_PiS4_S7_S7_d21rocsparse_index_base_, .Lfunc_end43-_ZN9rocsparseL18csric0_hash_kernelILj256ELj32ELj8E21rocsparse_complex_numIdEEEviPKiS4_PT2_S4_PiS4_S7_S7_d21rocsparse_index_base_
                                        ; -- End function
	.set _ZN9rocsparseL18csric0_hash_kernelILj256ELj32ELj8E21rocsparse_complex_numIdEEEviPKiS4_PT2_S4_PiS4_S7_S7_d21rocsparse_index_base_.num_vgpr, 49
	.set _ZN9rocsparseL18csric0_hash_kernelILj256ELj32ELj8E21rocsparse_complex_numIdEEEviPKiS4_PT2_S4_PiS4_S7_S7_d21rocsparse_index_base_.num_agpr, 0
	.set _ZN9rocsparseL18csric0_hash_kernelILj256ELj32ELj8E21rocsparse_complex_numIdEEEviPKiS4_PT2_S4_PiS4_S7_S7_d21rocsparse_index_base_.numbered_sgpr, 30
	.set _ZN9rocsparseL18csric0_hash_kernelILj256ELj32ELj8E21rocsparse_complex_numIdEEEviPKiS4_PT2_S4_PiS4_S7_S7_d21rocsparse_index_base_.num_named_barrier, 0
	.set _ZN9rocsparseL18csric0_hash_kernelILj256ELj32ELj8E21rocsparse_complex_numIdEEEviPKiS4_PT2_S4_PiS4_S7_S7_d21rocsparse_index_base_.private_seg_size, 0
	.set _ZN9rocsparseL18csric0_hash_kernelILj256ELj32ELj8E21rocsparse_complex_numIdEEEviPKiS4_PT2_S4_PiS4_S7_S7_d21rocsparse_index_base_.uses_vcc, 1
	.set _ZN9rocsparseL18csric0_hash_kernelILj256ELj32ELj8E21rocsparse_complex_numIdEEEviPKiS4_PT2_S4_PiS4_S7_S7_d21rocsparse_index_base_.uses_flat_scratch, 0
	.set _ZN9rocsparseL18csric0_hash_kernelILj256ELj32ELj8E21rocsparse_complex_numIdEEEviPKiS4_PT2_S4_PiS4_S7_S7_d21rocsparse_index_base_.has_dyn_sized_stack, 0
	.set _ZN9rocsparseL18csric0_hash_kernelILj256ELj32ELj8E21rocsparse_complex_numIdEEEviPKiS4_PT2_S4_PiS4_S7_S7_d21rocsparse_index_base_.has_recursion, 0
	.set _ZN9rocsparseL18csric0_hash_kernelILj256ELj32ELj8E21rocsparse_complex_numIdEEEviPKiS4_PT2_S4_PiS4_S7_S7_d21rocsparse_index_base_.has_indirect_call, 0
	.section	.AMDGPU.csdata,"",@progbits
; Kernel info:
; codeLenInByte = 3232
; TotalNumSgprs: 32
; NumVgprs: 49
; ScratchSize: 0
; MemoryBound: 0
; FloatMode: 240
; IeeeMode: 1
; LDSByteSize: 16384 bytes/workgroup (compile time only)
; SGPRBlocks: 0
; VGPRBlocks: 6
; NumSGPRsForWavesPerEU: 32
; NumVGPRsForWavesPerEU: 49
; Occupancy: 16
; WaveLimiterHint : 1
; COMPUTE_PGM_RSRC2:SCRATCH_EN: 0
; COMPUTE_PGM_RSRC2:USER_SGPR: 6
; COMPUTE_PGM_RSRC2:TRAP_HANDLER: 0
; COMPUTE_PGM_RSRC2:TGID_X_EN: 1
; COMPUTE_PGM_RSRC2:TGID_Y_EN: 0
; COMPUTE_PGM_RSRC2:TGID_Z_EN: 0
; COMPUTE_PGM_RSRC2:TIDIG_COMP_CNT: 0
	.section	.text._ZN9rocsparseL18csric0_hash_kernelILj256ELj32ELj16E21rocsparse_complex_numIdEEEviPKiS4_PT2_S4_PiS4_S7_S7_d21rocsparse_index_base_,"axG",@progbits,_ZN9rocsparseL18csric0_hash_kernelILj256ELj32ELj16E21rocsparse_complex_numIdEEEviPKiS4_PT2_S4_PiS4_S7_S7_d21rocsparse_index_base_,comdat
	.globl	_ZN9rocsparseL18csric0_hash_kernelILj256ELj32ELj16E21rocsparse_complex_numIdEEEviPKiS4_PT2_S4_PiS4_S7_S7_d21rocsparse_index_base_ ; -- Begin function _ZN9rocsparseL18csric0_hash_kernelILj256ELj32ELj16E21rocsparse_complex_numIdEEEviPKiS4_PT2_S4_PiS4_S7_S7_d21rocsparse_index_base_
	.p2align	8
	.type	_ZN9rocsparseL18csric0_hash_kernelILj256ELj32ELj16E21rocsparse_complex_numIdEEEviPKiS4_PT2_S4_PiS4_S7_S7_d21rocsparse_index_base_,@function
_ZN9rocsparseL18csric0_hash_kernelILj256ELj32ELj16E21rocsparse_complex_numIdEEEviPKiS4_PT2_S4_PiS4_S7_S7_d21rocsparse_index_base_: ; @_ZN9rocsparseL18csric0_hash_kernelILj256ELj32ELj16E21rocsparse_complex_numIdEEEviPKiS4_PT2_S4_PiS4_S7_S7_d21rocsparse_index_base_
; %bb.0:
	s_clause 0x1
	s_load_dwordx8 s[16:23], s[4:5], 0x8
	s_load_dwordx8 s[8:15], s[4:5], 0x28
	v_lshrrev_b32_e32 v1, 5, v0
	v_and_b32_e32 v28, 31, v0
	s_mov_b32 s0, 0
	v_lshlrev_b32_e32 v3, 11, v1
	v_lshlrev_b32_e32 v4, 2, v28
	v_or_b32_e32 v2, 0xffffffe0, v28
	v_or3_b32 v3, v3, v4, 0x4000
	v_mov_b32_e32 v4, -1
.LBB44_1:                               ; =>This Inner Loop Header: Depth=1
	v_add_nc_u32_e32 v2, 32, v2
	ds_write_b32 v3, v4
	v_add_nc_u32_e32 v3, 0x80, v3
	v_cmp_lt_u32_e32 vcc_lo, 0x1df, v2
	s_or_b32 s0, vcc_lo, s0
	s_andn2_b32 exec_lo, exec_lo, s0
	s_cbranch_execnz .LBB44_1
; %bb.2:
	s_or_b32 exec_lo, exec_lo, s0
	s_load_dword s0, s[4:5], 0x0
	s_lshl_b32 s1, s6, 3
	s_waitcnt lgkmcnt(0)
	buffer_gl0_inv
	v_and_or_b32 v1, 0x7fffff8, s1, v1
	v_cmp_gt_i32_e32 vcc_lo, s0, v1
	s_and_saveexec_b32 s0, vcc_lo
	s_cbranch_execz .LBB44_54
; %bb.3:
	v_lshlrev_b32_e32 v1, 2, v1
	s_load_dword s2, s[4:5], 0x50
	v_lshlrev_b32_e32 v0, 6, v0
	s_mov_b32 s0, exec_lo
	global_load_dword v10, v1, s[10:11]
	v_and_b32_e32 v29, 0x3800, v0
	v_or_b32_e32 v30, 0x4000, v29
	s_waitcnt vmcnt(0)
	v_ashrrev_i32_e32 v11, 31, v10
	v_lshlrev_b64 v[8:9], 2, v[10:11]
	v_add_co_u32 v1, vcc_lo, s16, v8
	v_add_co_ci_u32_e64 v2, null, s17, v9, vcc_lo
	v_add_co_u32 v3, vcc_lo, s22, v8
	v_add_co_ci_u32_e64 v4, null, s23, v9, vcc_lo
	global_load_dwordx2 v[1:2], v[1:2], off
	global_load_dword v11, v[3:4], off
	s_waitcnt vmcnt(1) lgkmcnt(0)
	v_subrev_nc_u32_e32 v12, s2, v1
	v_subrev_nc_u32_e32 v2, s2, v2
	v_add_nc_u32_e32 v0, v12, v28
	v_cmpx_lt_i32_e64 v0, v2
	s_cbranch_execz .LBB44_13
; %bb.4:
	v_mov_b32_e32 v3, -1
	s_mov_b32 s1, 0
	s_branch .LBB44_6
.LBB44_5:                               ;   in Loop: Header=BB44_6 Depth=1
	s_or_b32 exec_lo, exec_lo, s3
	v_add_nc_u32_e32 v0, 32, v0
	v_cmp_ge_i32_e32 vcc_lo, v0, v2
	s_or_b32 s1, vcc_lo, s1
	s_andn2_b32 exec_lo, exec_lo, s1
	s_cbranch_execz .LBB44_13
.LBB44_6:                               ; =>This Loop Header: Depth=1
                                        ;     Child Loop BB44_9 Depth 2
	v_ashrrev_i32_e32 v1, 31, v0
	s_mov_b32 s3, exec_lo
	v_lshlrev_b64 v[4:5], 2, v[0:1]
	v_add_co_u32 v4, vcc_lo, s18, v4
	v_add_co_ci_u32_e64 v5, null, s19, v5, vcc_lo
	global_load_dword v1, v[4:5], off
	s_waitcnt vmcnt(0)
	v_mul_lo_u32 v4, 0x67, v1
	v_and_b32_e32 v4, 0x1ff, v4
	v_lshl_add_u32 v5, v4, 2, v30
	ds_read_b32 v6, v5
	s_waitcnt lgkmcnt(0)
	v_cmpx_ne_u32_e64 v6, v1
	s_cbranch_execz .LBB44_5
; %bb.7:                                ;   in Loop: Header=BB44_6 Depth=1
	s_mov_b32 s6, 0
                                        ; implicit-def: $sgpr7
                                        ; implicit-def: $sgpr11
                                        ; implicit-def: $sgpr10
	s_inst_prefetch 0x1
	s_branch .LBB44_9
	.p2align	6
.LBB44_8:                               ;   in Loop: Header=BB44_9 Depth=2
	s_or_b32 exec_lo, exec_lo, s24
	s_and_b32 s24, exec_lo, s11
	s_or_b32 s6, s24, s6
	s_andn2_b32 s7, s7, exec_lo
	s_and_b32 s24, s10, exec_lo
	s_or_b32 s7, s7, s24
	s_andn2_b32 exec_lo, exec_lo, s6
	s_cbranch_execz .LBB44_11
.LBB44_9:                               ;   Parent Loop BB44_6 Depth=1
                                        ; =>  This Inner Loop Header: Depth=2
	ds_cmpst_rtn_b32 v5, v5, v3, v1
	v_mov_b32_e32 v6, v4
	s_or_b32 s10, s10, exec_lo
	s_or_b32 s11, s11, exec_lo
                                        ; implicit-def: $vgpr4
	s_waitcnt lgkmcnt(0)
	v_cmp_ne_u32_e32 vcc_lo, -1, v5
                                        ; implicit-def: $vgpr5
	s_and_saveexec_b32 s24, vcc_lo
	s_cbranch_execz .LBB44_8
; %bb.10:                               ;   in Loop: Header=BB44_9 Depth=2
	v_add_nc_u32_e32 v4, 1, v6
	s_andn2_b32 s11, s11, exec_lo
	s_andn2_b32 s10, s10, exec_lo
	v_and_b32_e32 v4, 0x1ff, v4
	v_lshl_add_u32 v5, v4, 2, v30
	ds_read_b32 v7, v5
	s_waitcnt lgkmcnt(0)
	v_cmp_eq_u32_e32 vcc_lo, v7, v1
	s_and_b32 s25, vcc_lo, exec_lo
	s_or_b32 s11, s11, s25
	s_branch .LBB44_8
.LBB44_11:                              ;   in Loop: Header=BB44_6 Depth=1
	s_inst_prefetch 0x2
	s_or_b32 exec_lo, exec_lo, s6
	s_and_saveexec_b32 s6, s7
	s_xor_b32 s6, exec_lo, s6
	s_cbranch_execz .LBB44_5
; %bb.12:                               ;   in Loop: Header=BB44_6 Depth=1
	v_lshl_add_u32 v1, v6, 2, v29
	ds_write_b32 v1, v0
	s_branch .LBB44_5
.LBB44_13:
	s_or_b32 exec_lo, exec_lo, s0
	v_mov_b32_e32 v14, 0
	v_mov_b32_e32 v16, 0
	;; [unrolled: 1-line block ×4, first 2 shown]
	s_mov_b32 s3, exec_lo
	s_waitcnt vmcnt(0) lgkmcnt(0)
	buffer_gl0_inv
	v_cmpx_lt_i32_e64 v12, v11
	s_cbranch_execz .LBB44_35
; %bb.14:
	v_mbcnt_lo_u32_b32 v31, -1, 0
	v_mov_b32_e32 v14, 0
	v_mov_b32_e32 v16, 0
	v_add_nc_u32_e32 v32, -1, v11
	v_subrev_nc_u32_e32 v33, s2, v28
	v_cmp_eq_u32_e64 s0, 31, v28
	v_mov_b32_e32 v15, 0
	v_xor_b32_e32 v34, 16, v31
	v_xor_b32_e32 v35, 8, v31
	;; [unrolled: 1-line block ×4, first 2 shown]
	v_mov_b32_e32 v17, 0
	v_xor_b32_e32 v38, 1, v31
	s_mov_b32 s6, 0
	s_branch .LBB44_17
.LBB44_15:                              ;   in Loop: Header=BB44_17 Depth=1
	s_or_b32 exec_lo, exec_lo, s7
	v_add_nc_u32_e32 v12, 1, v12
	v_cmp_ge_i32_e32 vcc_lo, v12, v11
	s_orn2_b32 s7, vcc_lo, exec_lo
.LBB44_16:                              ;   in Loop: Header=BB44_17 Depth=1
	s_or_b32 exec_lo, exec_lo, s1
	s_and_b32 s1, exec_lo, s7
	s_or_b32 s6, s1, s6
	s_andn2_b32 exec_lo, exec_lo, s6
	s_cbranch_execz .LBB44_34
.LBB44_17:                              ; =>This Loop Header: Depth=1
                                        ;     Child Loop BB44_18 Depth 2
                                        ;     Child Loop BB44_24 Depth 2
                                        ;       Child Loop BB44_27 Depth 3
	v_ashrrev_i32_e32 v13, 31, v12
	s_mov_b32 s1, 0
	v_lshlrev_b64 v[0:1], 2, v[12:13]
	v_lshlrev_b64 v[2:3], 4, v[12:13]
	v_add_co_u32 v0, vcc_lo, s18, v0
	v_add_co_ci_u32_e64 v1, null, s19, v1, vcc_lo
	v_add_co_u32 v18, vcc_lo, s20, v2
	v_add_co_ci_u32_e64 v19, null, s21, v3, vcc_lo
	global_load_dword v0, v[0:1], off
	s_waitcnt vmcnt(0)
	v_subrev_nc_u32_e32 v0, s2, v0
	v_ashrrev_i32_e32 v1, 31, v0
	v_lshlrev_b64 v[4:5], 2, v[0:1]
	v_add_co_u32 v6, vcc_lo, s16, v4
	v_add_co_ci_u32_e64 v7, null, s17, v5, vcc_lo
	v_add_co_u32 v20, vcc_lo, s22, v4
	v_add_co_ci_u32_e64 v21, null, s23, v5, vcc_lo
	global_load_dwordx4 v[0:3], v[18:19], off
	global_load_dword v13, v[6:7], off
	global_load_dword v6, v[20:21], off
	v_add_co_u32 v4, vcc_lo, s8, v4
	v_add_co_ci_u32_e64 v5, null, s9, v5, vcc_lo
.LBB44_18:                              ;   Parent Loop BB44_17 Depth=1
                                        ; =>  This Inner Loop Header: Depth=2
	global_load_dword v7, v[4:5], off glc dlc
	s_waitcnt vmcnt(0)
	v_cmp_ne_u32_e32 vcc_lo, 0, v7
	s_or_b32 s1, vcc_lo, s1
	s_andn2_b32 exec_lo, exec_lo, s1
	s_cbranch_execnz .LBB44_18
; %bb.19:                               ;   in Loop: Header=BB44_17 Depth=1
	s_or_b32 exec_lo, exec_lo, s1
	v_cmp_eq_u32_e32 vcc_lo, -1, v6
	buffer_gl1_inv
	buffer_gl0_inv
	s_mov_b32 s7, -1
	s_waitcnt lgkmcnt(3)
	v_cndmask_b32_e32 v24, v6, v32, vcc_lo
	s_waitcnt lgkmcnt(2)
	v_ashrrev_i32_e32 v25, 31, v24
	v_lshlrev_b64 v[4:5], 4, v[24:25]
	v_add_co_u32 v4, vcc_lo, s20, v4
	v_add_co_ci_u32_e64 v5, null, s21, v5, vcc_lo
	global_load_dwordx4 v[4:7], v[4:5], off
	s_waitcnt vmcnt(0)
	v_cmp_neq_f64_e32 vcc_lo, 0, v[4:5]
	v_cmp_neq_f64_e64 s1, 0, v[6:7]
	s_or_b32 s10, vcc_lo, s1
	s_and_saveexec_b32 s1, s10
	s_cbranch_execz .LBB44_16
; %bb.20:                               ;   in Loop: Header=BB44_17 Depth=1
	v_mov_b32_e32 v20, 0
	v_mov_b32_e32 v22, 0
	v_add_nc_u32_e32 v25, v33, v13
	v_mov_b32_e32 v21, 0
	v_mov_b32_e32 v23, 0
	s_mov_b32 s7, exec_lo
	v_cmpx_lt_i32_e64 v25, v24
	s_cbranch_execz .LBB44_32
; %bb.21:                               ;   in Loop: Header=BB44_17 Depth=1
	v_mov_b32_e32 v20, 0
	v_mov_b32_e32 v22, 0
	v_mov_b32_e32 v21, 0
	v_mov_b32_e32 v23, 0
	s_mov_b32 s10, 0
	s_branch .LBB44_24
.LBB44_22:                              ;   in Loop: Header=BB44_24 Depth=2
	s_or_b32 exec_lo, exec_lo, s24
.LBB44_23:                              ;   in Loop: Header=BB44_24 Depth=2
	s_or_b32 exec_lo, exec_lo, s11
	v_add_nc_u32_e32 v25, 32, v25
	v_cmp_ge_i32_e32 vcc_lo, v25, v24
	s_or_b32 s10, vcc_lo, s10
	s_andn2_b32 exec_lo, exec_lo, s10
	s_cbranch_execz .LBB44_31
.LBB44_24:                              ;   Parent Loop BB44_17 Depth=1
                                        ; =>  This Loop Header: Depth=2
                                        ;       Child Loop BB44_27 Depth 3
	s_waitcnt lgkmcnt(1)
	v_ashrrev_i32_e32 v26, 31, v25
	s_mov_b32 s11, exec_lo
	v_lshlrev_b64 v[39:40], 2, v[25:26]
	v_add_co_u32 v39, vcc_lo, s18, v39
	v_add_co_ci_u32_e64 v40, null, s19, v40, vcc_lo
	global_load_dword v13, v[39:40], off
	s_waitcnt vmcnt(0) lgkmcnt(0)
	v_mul_lo_u32 v27, 0x67, v13
	v_and_b32_e32 v40, 0x1ff, v27
	v_lshl_add_u32 v27, v40, 2, v30
	ds_read_b32 v39, v27
	s_waitcnt lgkmcnt(0)
	v_cmpx_ne_u32_e32 -1, v39
	s_cbranch_execz .LBB44_23
; %bb.25:                               ;   in Loop: Header=BB44_24 Depth=2
	s_mov_b32 s25, 0
                                        ; implicit-def: $sgpr24
                                        ; implicit-def: $sgpr27
                                        ; implicit-def: $sgpr26
	s_inst_prefetch 0x1
	s_branch .LBB44_27
	.p2align	6
.LBB44_26:                              ;   in Loop: Header=BB44_27 Depth=3
	s_or_b32 exec_lo, exec_lo, s28
	s_and_b32 s28, exec_lo, s27
	s_or_b32 s25, s28, s25
	s_andn2_b32 s24, s24, exec_lo
	s_and_b32 s28, s26, exec_lo
	s_or_b32 s24, s24, s28
	s_andn2_b32 exec_lo, exec_lo, s25
	s_cbranch_execz .LBB44_29
.LBB44_27:                              ;   Parent Loop BB44_17 Depth=1
                                        ;     Parent Loop BB44_24 Depth=2
                                        ; =>    This Inner Loop Header: Depth=3
	v_mov_b32_e32 v27, v40
	v_cmp_ne_u32_e32 vcc_lo, v39, v13
	s_or_b32 s26, s26, exec_lo
	s_or_b32 s27, s27, exec_lo
                                        ; implicit-def: $vgpr40
                                        ; implicit-def: $vgpr39
	s_and_saveexec_b32 s28, vcc_lo
	s_cbranch_execz .LBB44_26
; %bb.28:                               ;   in Loop: Header=BB44_27 Depth=3
	v_add_nc_u32_e32 v39, 1, v27
	s_andn2_b32 s27, s27, exec_lo
	s_andn2_b32 s26, s26, exec_lo
	v_and_b32_e32 v40, 0x1ff, v39
	v_lshl_add_u32 v39, v40, 2, v30
	ds_read_b32 v39, v39
	s_waitcnt lgkmcnt(0)
	v_cmp_eq_u32_e32 vcc_lo, -1, v39
	s_and_b32 s29, vcc_lo, exec_lo
	s_or_b32 s27, s27, s29
	s_branch .LBB44_26
.LBB44_29:                              ;   in Loop: Header=BB44_24 Depth=2
	s_inst_prefetch 0x2
	s_or_b32 exec_lo, exec_lo, s25
	s_and_saveexec_b32 s25, s24
	s_xor_b32 s24, exec_lo, s25
	s_cbranch_execz .LBB44_22
; %bb.30:                               ;   in Loop: Header=BB44_24 Depth=2
	v_lshl_add_u32 v13, v27, 2, v29
	v_lshlrev_b64 v[26:27], 4, v[25:26]
	ds_read_b32 v39, v13
	v_add_co_u32 v26, vcc_lo, s20, v26
	v_add_co_ci_u32_e64 v27, null, s21, v27, vcc_lo
	s_waitcnt lgkmcnt(0)
	v_ashrrev_i32_e32 v40, 31, v39
	v_lshlrev_b64 v[39:40], 4, v[39:40]
	v_add_co_u32 v43, vcc_lo, s20, v39
	v_add_co_ci_u32_e64 v44, null, s21, v40, vcc_lo
	s_clause 0x1
	global_load_dwordx4 v[39:42], v[26:27], off
	global_load_dwordx4 v[43:46], v[43:44], off
	s_waitcnt vmcnt(0)
	v_fma_f64 v[22:23], v[39:40], v[43:44], v[22:23]
	v_fma_f64 v[20:21], v[41:42], v[43:44], v[20:21]
	;; [unrolled: 1-line block ×3, first 2 shown]
	v_fma_f64 v[20:21], v[39:40], -v[45:46], v[20:21]
	s_branch .LBB44_22
.LBB44_31:                              ;   in Loop: Header=BB44_17 Depth=1
	s_or_b32 exec_lo, exec_lo, s10
.LBB44_32:                              ;   in Loop: Header=BB44_17 Depth=1
	s_or_b32 exec_lo, exec_lo, s7
	v_cmp_gt_i32_e32 vcc_lo, 32, v34
	v_cndmask_b32_e32 v13, v31, v34, vcc_lo
	v_cmp_gt_i32_e32 vcc_lo, 32, v35
	v_lshlrev_b32_e32 v13, 2, v13
	ds_bpermute_b32 v24, v13, v22
	ds_bpermute_b32 v25, v13, v23
	s_waitcnt lgkmcnt(3)
	ds_bpermute_b32 v26, v13, v20
	s_waitcnt lgkmcnt(3)
	ds_bpermute_b32 v27, v13, v21
	v_cndmask_b32_e32 v13, v31, v35, vcc_lo
	v_cmp_gt_i32_e32 vcc_lo, 32, v36
	v_lshlrev_b32_e32 v13, 2, v13
	s_waitcnt lgkmcnt(2)
	v_add_f64 v[22:23], v[22:23], v[24:25]
	s_waitcnt lgkmcnt(0)
	v_add_f64 v[20:21], v[20:21], v[26:27]
	ds_bpermute_b32 v24, v13, v22
	ds_bpermute_b32 v25, v13, v23
	ds_bpermute_b32 v26, v13, v20
	ds_bpermute_b32 v27, v13, v21
	v_cndmask_b32_e32 v13, v31, v36, vcc_lo
	v_cmp_gt_i32_e32 vcc_lo, 32, v37
	v_lshlrev_b32_e32 v13, 2, v13
	s_waitcnt lgkmcnt(2)
	v_add_f64 v[22:23], v[22:23], v[24:25]
	s_waitcnt lgkmcnt(0)
	v_add_f64 v[20:21], v[20:21], v[26:27]
	ds_bpermute_b32 v24, v13, v22
	ds_bpermute_b32 v25, v13, v23
	ds_bpermute_b32 v26, v13, v20
	;; [unrolled: 11-line block ×3, first 2 shown]
	ds_bpermute_b32 v27, v13, v25
	v_cndmask_b32_e32 v13, v31, v38, vcc_lo
	v_lshlrev_b32_e32 v13, 2, v13
	s_waitcnt lgkmcnt(2)
	v_add_f64 v[20:21], v[22:23], v[20:21]
	s_waitcnt lgkmcnt(0)
	v_add_f64 v[22:23], v[24:25], v[26:27]
	ds_bpermute_b32 v24, v13, v20
	ds_bpermute_b32 v25, v13, v21
	;; [unrolled: 1-line block ×4, first 2 shown]
	s_and_saveexec_b32 s7, s0
	s_cbranch_execz .LBB44_15
; %bb.33:                               ;   in Loop: Header=BB44_17 Depth=1
	v_mul_f64 v[39:40], v[6:7], v[6:7]
	s_waitcnt lgkmcnt(0)
	v_add_f64 v[22:23], v[22:23], v[26:27]
	v_add_f64 v[20:21], v[20:21], v[24:25]
	v_fma_f64 v[39:40], v[4:5], v[4:5], v[39:40]
	v_add_f64 v[2:3], v[2:3], -v[22:23]
	v_add_f64 v[0:1], v[0:1], -v[20:21]
	v_div_scale_f64 v[41:42], null, v[39:40], v[39:40], 1.0
	v_div_scale_f64 v[47:48], vcc_lo, 1.0, v[39:40], 1.0
	v_rcp_f64_e32 v[43:44], v[41:42]
	v_fma_f64 v[45:46], -v[41:42], v[43:44], 1.0
	v_fma_f64 v[43:44], v[43:44], v[45:46], v[43:44]
	v_fma_f64 v[45:46], -v[41:42], v[43:44], 1.0
	v_fma_f64 v[43:44], v[43:44], v[45:46], v[43:44]
	v_mul_f64 v[45:46], v[47:48], v[43:44]
	v_fma_f64 v[41:42], -v[41:42], v[45:46], v[47:48]
	v_div_fmas_f64 v[41:42], v[41:42], v[43:44], v[45:46]
	v_fma_f64 v[43:44], v[4:5], 0, -v[6:7]
	v_fma_f64 v[4:5], v[6:7], 0, v[4:5]
	v_div_fixup_f64 v[26:27], v[41:42], v[39:40], 1.0
	v_mul_f64 v[6:7], v[43:44], v[26:27]
	v_mul_f64 v[4:5], v[4:5], v[26:27]
	v_mul_f64 v[20:21], v[6:7], -v[2:3]
	v_mul_f64 v[6:7], v[6:7], v[0:1]
	v_fma_f64 v[0:1], v[0:1], v[4:5], v[20:21]
	v_fma_f64 v[2:3], v[2:3], v[4:5], v[6:7]
	;; [unrolled: 1-line block ×4, first 2 shown]
	global_store_dwordx4 v[18:19], v[0:3], off
	v_fma_f64 v[16:17], v[2:3], v[2:3], v[4:5]
	v_fma_f64 v[14:15], v[0:1], -v[2:3], v[6:7]
	s_branch .LBB44_15
.LBB44_34:
	s_or_b32 exec_lo, exec_lo, s6
.LBB44_35:
	s_or_b32 exec_lo, exec_lo, s3
	v_cmp_eq_u32_e64 s0, 31, v28
	v_cmp_lt_i32_e32 vcc_lo, -1, v11
	s_and_b32 s1, s0, vcc_lo
	s_and_saveexec_b32 s3, s1
	s_cbranch_execz .LBB44_52
; %bb.36:
	v_mov_b32_e32 v12, 0
	s_load_dwordx2 s[4:5], s[4:5], 0x48
	v_lshlrev_b64 v[0:1], 4, v[11:12]
	v_add_co_u32 v0, vcc_lo, s20, v0
	v_add_co_ci_u32_e64 v1, null, s21, v1, vcc_lo
	global_load_dwordx4 v[2:5], v[0:1], off
	s_waitcnt lgkmcnt(0)
	v_mul_f64 v[11:12], s[4:5], s[4:5]
	s_waitcnt vmcnt(0)
	v_add_f64 v[2:3], v[2:3], -v[16:17]
	v_add_f64 v[6:7], v[4:5], -v[14:15]
	v_cmp_le_f64_e32 vcc_lo, v[2:3], v[11:12]
	v_cmp_eq_f64_e64 s1, 0, v[6:7]
	v_add_nc_u32_e32 v12, s2, v10
	s_and_b32 s2, vcc_lo, s1
	s_and_saveexec_b32 s1, s2
	s_cbranch_execz .LBB44_41
; %bb.37:
	s_mov_b32 s4, exec_lo
	s_brev_b32 s2, -2
.LBB44_38:                              ; =>This Inner Loop Header: Depth=1
	s_ff1_i32_b32 s5, s4
	v_readlane_b32 s6, v12, s5
	s_lshl_b32 s5, 1, s5
	s_andn2_b32 s4, s4, s5
	s_min_i32 s2, s2, s6
	s_cmp_lg_u32 s4, 0
	s_cbranch_scc1 .LBB44_38
; %bb.39:
	v_mbcnt_lo_u32_b32 v4, exec_lo, 0
	s_mov_b32 s4, exec_lo
	v_cmpx_eq_u32_e32 0, v4
	s_xor_b32 s4, exec_lo, s4
	s_cbranch_execz .LBB44_41
; %bb.40:
	v_mov_b32_e32 v4, 0
	v_mov_b32_e32 v5, s2
	global_atomic_smin v4, v5, s[14:15]
.LBB44_41:
	s_or_b32 exec_lo, exec_lo, s1
	v_cmp_gt_f64_e32 vcc_lo, 0, v[2:3]
	v_xor_b32_e32 v4, 0x80000000, v3
	v_xor_b32_e32 v5, 0x80000000, v7
	s_mov_b32 s1, exec_lo
                                        ; implicit-def: $vgpr10_vgpr11
	v_cndmask_b32_e32 v3, v3, v4, vcc_lo
	v_cmp_gt_f64_e32 vcc_lo, 0, v[6:7]
	v_mov_b32_e32 v4, v6
	v_cndmask_b32_e32 v5, v7, v5, vcc_lo
	v_cmpx_ngt_f64_e32 v[2:3], v[4:5]
	s_xor_b32 s1, exec_lo, s1
	s_cbranch_execz .LBB44_45
; %bb.42:
	v_mov_b32_e32 v10, 0
	v_mov_b32_e32 v11, 0
	s_mov_b32 s2, exec_lo
	v_cmpx_neq_f64_e32 0, v[6:7]
	s_cbranch_execz .LBB44_44
; %bb.43:
	v_div_scale_f64 v[6:7], null, v[4:5], v[4:5], v[2:3]
	v_div_scale_f64 v[15:16], vcc_lo, v[2:3], v[4:5], v[2:3]
	v_rcp_f64_e32 v[10:11], v[6:7]
	v_fma_f64 v[13:14], -v[6:7], v[10:11], 1.0
	v_fma_f64 v[10:11], v[10:11], v[13:14], v[10:11]
	v_fma_f64 v[13:14], -v[6:7], v[10:11], 1.0
	v_fma_f64 v[10:11], v[10:11], v[13:14], v[10:11]
	v_mul_f64 v[13:14], v[15:16], v[10:11]
	v_fma_f64 v[6:7], -v[6:7], v[13:14], v[15:16]
	v_div_fmas_f64 v[6:7], v[6:7], v[10:11], v[13:14]
	v_div_fixup_f64 v[2:3], v[6:7], v[4:5], v[2:3]
	v_fma_f64 v[2:3], v[2:3], v[2:3], 1.0
	v_cmp_gt_f64_e32 vcc_lo, 0x10000000, v[2:3]
	v_cndmask_b32_e64 v6, 0, 0x100, vcc_lo
	v_ldexp_f64 v[2:3], v[2:3], v6
	v_rsq_f64_e32 v[6:7], v[2:3]
	v_mul_f64 v[10:11], v[2:3], v[6:7]
	v_mul_f64 v[6:7], v[6:7], 0.5
	v_fma_f64 v[13:14], -v[6:7], v[10:11], 0.5
	v_fma_f64 v[10:11], v[10:11], v[13:14], v[10:11]
	v_fma_f64 v[6:7], v[6:7], v[13:14], v[6:7]
	v_fma_f64 v[13:14], -v[10:11], v[10:11], v[2:3]
	v_fma_f64 v[10:11], v[13:14], v[6:7], v[10:11]
	v_fma_f64 v[13:14], -v[10:11], v[10:11], v[2:3]
	v_fma_f64 v[6:7], v[13:14], v[6:7], v[10:11]
	v_cndmask_b32_e64 v10, 0, 0xffffff80, vcc_lo
	v_cmp_class_f64_e64 vcc_lo, v[2:3], 0x260
	v_ldexp_f64 v[6:7], v[6:7], v10
	v_cndmask_b32_e32 v3, v7, v3, vcc_lo
	v_cndmask_b32_e32 v2, v6, v2, vcc_lo
	v_mul_f64 v[10:11], v[4:5], v[2:3]
.LBB44_44:
	s_or_b32 exec_lo, exec_lo, s2
                                        ; implicit-def: $vgpr2_vgpr3
                                        ; implicit-def: $vgpr4_vgpr5
.LBB44_45:
	s_andn2_saveexec_b32 s1, s1
	s_cbranch_execz .LBB44_47
; %bb.46:
	v_div_scale_f64 v[6:7], null, v[2:3], v[2:3], v[4:5]
	v_div_scale_f64 v[15:16], vcc_lo, v[4:5], v[2:3], v[4:5]
	v_rcp_f64_e32 v[10:11], v[6:7]
	v_fma_f64 v[13:14], -v[6:7], v[10:11], 1.0
	v_fma_f64 v[10:11], v[10:11], v[13:14], v[10:11]
	v_fma_f64 v[13:14], -v[6:7], v[10:11], 1.0
	v_fma_f64 v[10:11], v[10:11], v[13:14], v[10:11]
	v_mul_f64 v[13:14], v[15:16], v[10:11]
	v_fma_f64 v[6:7], -v[6:7], v[13:14], v[15:16]
	v_div_fmas_f64 v[6:7], v[6:7], v[10:11], v[13:14]
	v_div_fixup_f64 v[4:5], v[6:7], v[2:3], v[4:5]
	v_fma_f64 v[4:5], v[4:5], v[4:5], 1.0
	v_cmp_gt_f64_e32 vcc_lo, 0x10000000, v[4:5]
	v_cndmask_b32_e64 v6, 0, 0x100, vcc_lo
	v_ldexp_f64 v[4:5], v[4:5], v6
	v_rsq_f64_e32 v[6:7], v[4:5]
	v_mul_f64 v[10:11], v[4:5], v[6:7]
	v_mul_f64 v[6:7], v[6:7], 0.5
	v_fma_f64 v[13:14], -v[6:7], v[10:11], 0.5
	v_fma_f64 v[10:11], v[10:11], v[13:14], v[10:11]
	v_fma_f64 v[6:7], v[6:7], v[13:14], v[6:7]
	v_fma_f64 v[13:14], -v[10:11], v[10:11], v[4:5]
	v_fma_f64 v[10:11], v[13:14], v[6:7], v[10:11]
	v_fma_f64 v[13:14], -v[10:11], v[10:11], v[4:5]
	v_fma_f64 v[6:7], v[13:14], v[6:7], v[10:11]
	v_cndmask_b32_e64 v10, 0, 0xffffff80, vcc_lo
	v_cmp_class_f64_e64 vcc_lo, v[4:5], 0x260
	v_ldexp_f64 v[6:7], v[6:7], v10
	v_cndmask_b32_e32 v5, v7, v5, vcc_lo
	v_cndmask_b32_e32 v4, v6, v4, vcc_lo
	v_mul_f64 v[10:11], v[2:3], v[4:5]
.LBB44_47:
	s_or_b32 exec_lo, exec_lo, s1
	v_cmp_gt_f64_e32 vcc_lo, 0x10000000, v[10:11]
	v_cmp_eq_f64_e64 s1, 0, v[10:11]
	v_cndmask_b32_e64 v2, 0, 0x100, vcc_lo
	v_ldexp_f64 v[2:3], v[10:11], v2
	v_rsq_f64_e32 v[4:5], v[2:3]
	v_mul_f64 v[6:7], v[2:3], v[4:5]
	v_mul_f64 v[4:5], v[4:5], 0.5
	v_fma_f64 v[13:14], -v[4:5], v[6:7], 0.5
	v_fma_f64 v[6:7], v[6:7], v[13:14], v[6:7]
	v_fma_f64 v[4:5], v[4:5], v[13:14], v[4:5]
	v_fma_f64 v[13:14], -v[6:7], v[6:7], v[2:3]
	v_fma_f64 v[6:7], v[13:14], v[4:5], v[6:7]
	v_fma_f64 v[13:14], -v[6:7], v[6:7], v[2:3]
	v_fma_f64 v[4:5], v[13:14], v[4:5], v[6:7]
	v_cndmask_b32_e64 v6, 0, 0xffffff80, vcc_lo
	v_cmp_class_f64_e64 vcc_lo, v[2:3], 0x260
	v_ldexp_f64 v[5:6], v[4:5], v6
	v_mov_b32_e32 v4, 0
	v_cndmask_b32_e32 v3, v6, v3, vcc_lo
	v_cndmask_b32_e32 v2, v5, v2, vcc_lo
	v_mov_b32_e32 v5, v4
	global_store_dwordx4 v[0:1], v[2:5], off
	s_and_b32 exec_lo, exec_lo, s1
	s_cbranch_execz .LBB44_52
; %bb.48:
	s_mov_b32 s2, exec_lo
	s_brev_b32 s1, -2
.LBB44_49:                              ; =>This Inner Loop Header: Depth=1
	s_ff1_i32_b32 s4, s2
	v_readlane_b32 s5, v12, s4
	s_lshl_b32 s4, 1, s4
	s_andn2_b32 s2, s2, s4
	s_min_i32 s1, s1, s5
	s_cmp_lg_u32 s2, 0
	s_cbranch_scc1 .LBB44_49
; %bb.50:
	v_mbcnt_lo_u32_b32 v0, exec_lo, 0
	s_mov_b32 s2, exec_lo
	v_cmpx_eq_u32_e32 0, v0
	s_xor_b32 s2, exec_lo, s2
	s_cbranch_execz .LBB44_52
; %bb.51:
	v_mov_b32_e32 v0, 0
	v_mov_b32_e32 v1, s1
	global_atomic_smin v0, v1, s[12:13]
.LBB44_52:
	s_or_b32 exec_lo, exec_lo, s3
	s_and_b32 exec_lo, exec_lo, s0
	s_cbranch_execz .LBB44_54
; %bb.53:
	v_add_co_u32 v0, vcc_lo, s8, v8
	v_add_co_ci_u32_e64 v1, null, s9, v9, vcc_lo
	v_mov_b32_e32 v2, 1
	s_waitcnt lgkmcnt(0)
	s_waitcnt_vscnt null, 0x0
	global_store_dword v[0:1], v2, off
.LBB44_54:
	s_endpgm
	.section	.rodata,"a",@progbits
	.p2align	6, 0x0
	.amdhsa_kernel _ZN9rocsparseL18csric0_hash_kernelILj256ELj32ELj16E21rocsparse_complex_numIdEEEviPKiS4_PT2_S4_PiS4_S7_S7_d21rocsparse_index_base_
		.amdhsa_group_segment_fixed_size 32768
		.amdhsa_private_segment_fixed_size 0
		.amdhsa_kernarg_size 84
		.amdhsa_user_sgpr_count 6
		.amdhsa_user_sgpr_private_segment_buffer 1
		.amdhsa_user_sgpr_dispatch_ptr 0
		.amdhsa_user_sgpr_queue_ptr 0
		.amdhsa_user_sgpr_kernarg_segment_ptr 1
		.amdhsa_user_sgpr_dispatch_id 0
		.amdhsa_user_sgpr_flat_scratch_init 0
		.amdhsa_user_sgpr_private_segment_size 0
		.amdhsa_wavefront_size32 1
		.amdhsa_uses_dynamic_stack 0
		.amdhsa_system_sgpr_private_segment_wavefront_offset 0
		.amdhsa_system_sgpr_workgroup_id_x 1
		.amdhsa_system_sgpr_workgroup_id_y 0
		.amdhsa_system_sgpr_workgroup_id_z 0
		.amdhsa_system_sgpr_workgroup_info 0
		.amdhsa_system_vgpr_workitem_id 0
		.amdhsa_next_free_vgpr 113
		.amdhsa_next_free_sgpr 30
		.amdhsa_reserve_vcc 1
		.amdhsa_reserve_flat_scratch 0
		.amdhsa_float_round_mode_32 0
		.amdhsa_float_round_mode_16_64 0
		.amdhsa_float_denorm_mode_32 3
		.amdhsa_float_denorm_mode_16_64 3
		.amdhsa_dx10_clamp 1
		.amdhsa_ieee_mode 1
		.amdhsa_fp16_overflow 0
		.amdhsa_workgroup_processor_mode 1
		.amdhsa_memory_ordered 1
		.amdhsa_forward_progress 1
		.amdhsa_shared_vgpr_count 0
		.amdhsa_exception_fp_ieee_invalid_op 0
		.amdhsa_exception_fp_denorm_src 0
		.amdhsa_exception_fp_ieee_div_zero 0
		.amdhsa_exception_fp_ieee_overflow 0
		.amdhsa_exception_fp_ieee_underflow 0
		.amdhsa_exception_fp_ieee_inexact 0
		.amdhsa_exception_int_div_zero 0
	.end_amdhsa_kernel
	.section	.text._ZN9rocsparseL18csric0_hash_kernelILj256ELj32ELj16E21rocsparse_complex_numIdEEEviPKiS4_PT2_S4_PiS4_S7_S7_d21rocsparse_index_base_,"axG",@progbits,_ZN9rocsparseL18csric0_hash_kernelILj256ELj32ELj16E21rocsparse_complex_numIdEEEviPKiS4_PT2_S4_PiS4_S7_S7_d21rocsparse_index_base_,comdat
.Lfunc_end44:
	.size	_ZN9rocsparseL18csric0_hash_kernelILj256ELj32ELj16E21rocsparse_complex_numIdEEEviPKiS4_PT2_S4_PiS4_S7_S7_d21rocsparse_index_base_, .Lfunc_end44-_ZN9rocsparseL18csric0_hash_kernelILj256ELj32ELj16E21rocsparse_complex_numIdEEEviPKiS4_PT2_S4_PiS4_S7_S7_d21rocsparse_index_base_
                                        ; -- End function
	.set _ZN9rocsparseL18csric0_hash_kernelILj256ELj32ELj16E21rocsparse_complex_numIdEEEviPKiS4_PT2_S4_PiS4_S7_S7_d21rocsparse_index_base_.num_vgpr, 49
	.set _ZN9rocsparseL18csric0_hash_kernelILj256ELj32ELj16E21rocsparse_complex_numIdEEEviPKiS4_PT2_S4_PiS4_S7_S7_d21rocsparse_index_base_.num_agpr, 0
	.set _ZN9rocsparseL18csric0_hash_kernelILj256ELj32ELj16E21rocsparse_complex_numIdEEEviPKiS4_PT2_S4_PiS4_S7_S7_d21rocsparse_index_base_.numbered_sgpr, 30
	.set _ZN9rocsparseL18csric0_hash_kernelILj256ELj32ELj16E21rocsparse_complex_numIdEEEviPKiS4_PT2_S4_PiS4_S7_S7_d21rocsparse_index_base_.num_named_barrier, 0
	.set _ZN9rocsparseL18csric0_hash_kernelILj256ELj32ELj16E21rocsparse_complex_numIdEEEviPKiS4_PT2_S4_PiS4_S7_S7_d21rocsparse_index_base_.private_seg_size, 0
	.set _ZN9rocsparseL18csric0_hash_kernelILj256ELj32ELj16E21rocsparse_complex_numIdEEEviPKiS4_PT2_S4_PiS4_S7_S7_d21rocsparse_index_base_.uses_vcc, 1
	.set _ZN9rocsparseL18csric0_hash_kernelILj256ELj32ELj16E21rocsparse_complex_numIdEEEviPKiS4_PT2_S4_PiS4_S7_S7_d21rocsparse_index_base_.uses_flat_scratch, 0
	.set _ZN9rocsparseL18csric0_hash_kernelILj256ELj32ELj16E21rocsparse_complex_numIdEEEviPKiS4_PT2_S4_PiS4_S7_S7_d21rocsparse_index_base_.has_dyn_sized_stack, 0
	.set _ZN9rocsparseL18csric0_hash_kernelILj256ELj32ELj16E21rocsparse_complex_numIdEEEviPKiS4_PT2_S4_PiS4_S7_S7_d21rocsparse_index_base_.has_recursion, 0
	.set _ZN9rocsparseL18csric0_hash_kernelILj256ELj32ELj16E21rocsparse_complex_numIdEEEviPKiS4_PT2_S4_PiS4_S7_S7_d21rocsparse_index_base_.has_indirect_call, 0
	.section	.AMDGPU.csdata,"",@progbits
; Kernel info:
; codeLenInByte = 3232
; TotalNumSgprs: 32
; NumVgprs: 49
; ScratchSize: 0
; MemoryBound: 0
; FloatMode: 240
; IeeeMode: 1
; LDSByteSize: 32768 bytes/workgroup (compile time only)
; SGPRBlocks: 0
; VGPRBlocks: 14
; NumSGPRsForWavesPerEU: 32
; NumVGPRsForWavesPerEU: 113
; Occupancy: 8
; WaveLimiterHint : 1
; COMPUTE_PGM_RSRC2:SCRATCH_EN: 0
; COMPUTE_PGM_RSRC2:USER_SGPR: 6
; COMPUTE_PGM_RSRC2:TRAP_HANDLER: 0
; COMPUTE_PGM_RSRC2:TGID_X_EN: 1
; COMPUTE_PGM_RSRC2:TGID_Y_EN: 0
; COMPUTE_PGM_RSRC2:TGID_Z_EN: 0
; COMPUTE_PGM_RSRC2:TIDIG_COMP_CNT: 0
	.section	.text._ZN9rocsparseL23csric0_binsearch_kernelILj256ELj32ELb0E21rocsparse_complex_numIdEEEviPKiS4_PT2_S4_PiS4_S7_S7_d21rocsparse_index_base_,"axG",@progbits,_ZN9rocsparseL23csric0_binsearch_kernelILj256ELj32ELb0E21rocsparse_complex_numIdEEEviPKiS4_PT2_S4_PiS4_S7_S7_d21rocsparse_index_base_,comdat
	.globl	_ZN9rocsparseL23csric0_binsearch_kernelILj256ELj32ELb0E21rocsparse_complex_numIdEEEviPKiS4_PT2_S4_PiS4_S7_S7_d21rocsparse_index_base_ ; -- Begin function _ZN9rocsparseL23csric0_binsearch_kernelILj256ELj32ELb0E21rocsparse_complex_numIdEEEviPKiS4_PT2_S4_PiS4_S7_S7_d21rocsparse_index_base_
	.p2align	8
	.type	_ZN9rocsparseL23csric0_binsearch_kernelILj256ELj32ELb0E21rocsparse_complex_numIdEEEviPKiS4_PT2_S4_PiS4_S7_S7_d21rocsparse_index_base_,@function
_ZN9rocsparseL23csric0_binsearch_kernelILj256ELj32ELb0E21rocsparse_complex_numIdEEEviPKiS4_PT2_S4_PiS4_S7_S7_d21rocsparse_index_base_: ; @_ZN9rocsparseL23csric0_binsearch_kernelILj256ELj32ELb0E21rocsparse_complex_numIdEEEviPKiS4_PT2_S4_PiS4_S7_S7_d21rocsparse_index_base_
; %bb.0:
	s_load_dword s0, s[4:5], 0x0
	v_lshrrev_b32_e32 v1, 5, v0
	s_lshl_b32 s1, s6, 3
	v_and_or_b32 v1, 0x7fffff8, s1, v1
	s_waitcnt lgkmcnt(0)
	v_cmp_gt_i32_e32 vcc_lo, s0, v1
	s_and_saveexec_b32 s0, vcc_lo
	s_cbranch_execz .LBB45_53
; %bb.1:
	s_load_dwordx8 s[8:15], s[4:5], 0x18
	v_lshlrev_b32_e32 v1, 2, v1
	v_mov_b32_e32 v13, 0
	v_mov_b32_e32 v15, 0
	v_and_b32_e32 v12, 31, v0
	v_mov_b32_e32 v14, 0
	v_mov_b32_e32 v16, 0
	s_mov_b32 s20, exec_lo
	s_waitcnt lgkmcnt(0)
	global_load_dword v10, v1, s[14:15]
	s_load_dwordx2 s[14:15], s[4:5], 0x8
	s_waitcnt vmcnt(0)
	v_ashrrev_i32_e32 v11, 31, v10
	v_lshlrev_b64 v[8:9], 2, v[10:11]
	s_waitcnt lgkmcnt(0)
	v_add_co_u32 v1, vcc_lo, s14, v8
	v_add_co_ci_u32_e64 v2, null, s15, v9, vcc_lo
	v_add_co_u32 v3, vcc_lo, s10, v8
	v_add_co_ci_u32_e64 v4, null, s11, v9, vcc_lo
	global_load_dword v5, v[1:2], off
	global_load_dword v11, v[3:4], off
	s_clause 0x2
	s_load_dword s3, s[4:5], 0x50
	s_load_dwordx4 s[16:19], s[4:5], 0x38
	s_load_dwordx2 s[6:7], s[4:5], 0x48
	s_waitcnt vmcnt(1) lgkmcnt(0)
	v_subrev_nc_u32_e32 v29, s3, v5
	s_waitcnt vmcnt(0)
	v_cmpx_lt_i32_e64 v29, v11
	s_cbranch_execz .LBB45_34
; %bb.2:
	global_load_dword v0, v[1:2], off offset:4
	s_load_dwordx2 s[4:5], s[4:5], 0x10
	v_mov_b32_e32 v13, 0
	v_mov_b32_e32 v15, 0
	v_add_nc_u32_e32 v30, -1, v11
	v_cmp_eq_u32_e64 s0, 0, v12
	v_subrev_nc_u32_e32 v31, s3, v12
	v_cmp_eq_u32_e64 s1, 31, v12
	v_mov_b32_e32 v14, 0
	v_mov_b32_e32 v32, 0
	v_mbcnt_lo_u32_b32 v33, -1, 0
	v_mov_b32_e32 v16, 0
	v_mov_b32_e32 v17, v29
	s_mov_b32 s21, 0
	s_waitcnt vmcnt(0)
	v_xad_u32 v34, s3, -1, v0
	s_branch .LBB45_5
.LBB45_3:                               ;   in Loop: Header=BB45_5 Depth=1
	s_or_b32 exec_lo, exec_lo, s23
.LBB45_4:                               ;   in Loop: Header=BB45_5 Depth=1
	s_or_b32 exec_lo, exec_lo, s2
	v_add_nc_u32_e32 v17, 1, v17
	v_cmp_ge_i32_e32 vcc_lo, v17, v11
	s_or_b32 s2, s22, vcc_lo
	s_and_b32 s2, exec_lo, s2
	s_or_b32 s21, s2, s21
	s_andn2_b32 exec_lo, exec_lo, s21
	s_cbranch_execz .LBB45_33
.LBB45_5:                               ; =>This Loop Header: Depth=1
                                        ;     Child Loop BB45_7 Depth 2
                                        ;     Child Loop BB45_11 Depth 2
	;; [unrolled: 1-line block ×3, first 2 shown]
                                        ;       Child Loop BB45_19 Depth 3
                                        ;     Child Loop BB45_30 Depth 2
	v_ashrrev_i32_e32 v18, 31, v17
	s_mov_b32 s2, exec_lo
	v_lshlrev_b64 v[0:1], 2, v[17:18]
	v_lshlrev_b64 v[2:3], 4, v[17:18]
	s_waitcnt lgkmcnt(0)
	v_add_co_u32 v0, vcc_lo, s4, v0
	v_add_co_ci_u32_e64 v1, null, s5, v1, vcc_lo
	v_add_co_u32 v18, vcc_lo, s8, v2
	v_add_co_ci_u32_e64 v19, null, s9, v3, vcc_lo
	global_load_dword v22, v[0:1], off
	s_waitcnt vmcnt(0)
	v_subrev_nc_u32_e32 v0, s3, v22
	v_ashrrev_i32_e32 v1, 31, v0
	v_lshlrev_b64 v[0:1], 2, v[0:1]
	v_add_co_u32 v6, vcc_lo, s14, v0
	v_add_co_ci_u32_e64 v7, null, s15, v1, vcc_lo
	v_add_co_u32 v20, vcc_lo, s10, v0
	v_add_co_ci_u32_e64 v21, null, s11, v1, vcc_lo
	;; [unrolled: 2-line block ×3, first 2 shown]
	global_load_dwordx4 v[0:3], v[18:19], off
	global_load_dword v23, v[6:7], off
	global_load_dword v6, v[20:21], off
	global_load_dword v7, v[4:5], off glc dlc
	s_waitcnt vmcnt(0)
	v_cmpx_eq_u32_e32 0, v7
	s_cbranch_execz .LBB45_8
; %bb.6:                                ;   in Loop: Header=BB45_5 Depth=1
	s_mov_b32 s22, 0
.LBB45_7:                               ;   Parent Loop BB45_5 Depth=1
                                        ; =>  This Inner Loop Header: Depth=2
	global_load_dword v7, v[4:5], off glc dlc
	s_waitcnt vmcnt(0)
	v_cmp_ne_u32_e32 vcc_lo, 0, v7
	s_or_b32 s22, vcc_lo, s22
	s_andn2_b32 exec_lo, exec_lo, s22
	s_cbranch_execnz .LBB45_7
.LBB45_8:                               ;   in Loop: Header=BB45_5 Depth=1
	s_or_b32 exec_lo, exec_lo, s2
	v_cmp_eq_u32_e32 vcc_lo, -1, v6
	buffer_gl1_inv
	buffer_gl0_inv
	v_cndmask_b32_e32 v20, v6, v30, vcc_lo
	v_ashrrev_i32_e32 v21, 31, v20
	v_lshlrev_b64 v[4:5], 4, v[20:21]
	v_add_co_u32 v4, vcc_lo, s8, v4
	v_add_co_ci_u32_e64 v5, null, s9, v5, vcc_lo
	global_load_dwordx4 v[4:7], v[4:5], off
	s_waitcnt vmcnt(0)
	v_cmp_eq_f64_e64 s2, 0, v[4:5]
	v_cmp_eq_f64_e32 vcc_lo, 0, v[6:7]
	s_and_b32 s22, s2, vcc_lo
	s_xor_b32 s2, s22, -1
	s_and_saveexec_b32 s23, s2
	s_xor_b32 s23, exec_lo, s23
	s_cbranch_execz .LBB45_27
; %bb.9:                                ;   in Loop: Header=BB45_5 Depth=1
	v_cmp_ge_f64_e64 s2, s[6:7], v[4:5]
	s_and_b32 s2, s0, s2
	s_and_b32 s24, vcc_lo, s2
	s_and_saveexec_b32 s2, s24
	s_cbranch_execz .LBB45_14
; %bb.10:                               ;   in Loop: Header=BB45_5 Depth=1
	s_mov_b32 s25, exec_lo
	s_brev_b32 s24, -2
.LBB45_11:                              ;   Parent Loop BB45_5 Depth=1
                                        ; =>  This Inner Loop Header: Depth=2
	s_ff1_i32_b32 s26, s25
	v_readlane_b32 s27, v22, s26
	s_lshl_b32 s26, 1, s26
	s_andn2_b32 s25, s25, s26
	s_min_i32 s24, s24, s27
	s_cmp_lg_u32 s25, 0
	s_cbranch_scc1 .LBB45_11
; %bb.12:                               ;   in Loop: Header=BB45_5 Depth=1
	v_mbcnt_lo_u32_b32 v21, exec_lo, 0
	s_mov_b32 s25, exec_lo
	v_cmpx_eq_u32_e32 0, v21
	s_xor_b32 s25, exec_lo, s25
	s_cbranch_execz .LBB45_14
; %bb.13:                               ;   in Loop: Header=BB45_5 Depth=1
	v_mov_b32_e32 v21, s24
	global_atomic_smin v32, v21, s[18:19]
.LBB45_14:                              ;   in Loop: Header=BB45_5 Depth=1
	s_or_b32 exec_lo, exec_lo, s2
	v_add_nc_u32_e32 v25, v31, v23
	v_mov_b32_e32 v21, 0
	v_mov_b32_e32 v23, 0
	;; [unrolled: 1-line block ×4, first 2 shown]
	s_mov_b32 s2, exec_lo
	v_cmpx_lt_i32_e64 v25, v20
	s_cbranch_execz .LBB45_24
; %bb.15:                               ;   in Loop: Header=BB45_5 Depth=1
	v_mov_b32_e32 v21, 0
	v_mov_b32_e32 v23, 0
	;; [unrolled: 1-line block ×5, first 2 shown]
	s_mov_b32 s24, 0
	s_branch .LBB45_17
.LBB45_16:                              ;   in Loop: Header=BB45_17 Depth=2
	s_or_b32 exec_lo, exec_lo, s25
	v_add_nc_u32_e32 v25, 32, v25
	v_cmp_ge_i32_e32 vcc_lo, v25, v20
	s_or_b32 s24, vcc_lo, s24
	s_andn2_b32 exec_lo, exec_lo, s24
	s_cbranch_execz .LBB45_23
.LBB45_17:                              ;   Parent Loop BB45_5 Depth=1
                                        ; =>  This Loop Header: Depth=2
                                        ;       Child Loop BB45_19 Depth 3
	v_add_nc_u32_e32 v26, v35, v34
	s_mov_b32 s25, exec_lo
	v_ashrrev_i32_e32 v27, 1, v26
	v_ashrrev_i32_e32 v26, 31, v25
	;; [unrolled: 1-line block ×3, first 2 shown]
	v_lshlrev_b64 v[36:37], 2, v[25:26]
	v_lshlrev_b64 v[38:39], 2, v[27:28]
	v_add_co_u32 v36, vcc_lo, s4, v36
	v_add_co_ci_u32_e64 v37, null, s5, v37, vcc_lo
	v_add_co_u32 v38, vcc_lo, s4, v38
	v_add_co_ci_u32_e64 v39, null, s5, v39, vcc_lo
	s_clause 0x1
	global_load_dword v36, v[36:37], off
	global_load_dword v37, v[38:39], off
	v_cmpx_lt_i32_e64 v35, v34
	s_cbranch_execz .LBB45_21
; %bb.18:                               ;   in Loop: Header=BB45_17 Depth=2
	v_mov_b32_e32 v38, v34
	s_mov_b32 s26, 0
	.p2align	6
.LBB45_19:                              ;   Parent Loop BB45_5 Depth=1
                                        ;     Parent Loop BB45_17 Depth=2
                                        ; =>    This Inner Loop Header: Depth=3
	v_add_nc_u32_e32 v28, 1, v27
	s_waitcnt vmcnt(0)
	v_cmp_lt_i32_e32 vcc_lo, v37, v36
	v_cndmask_b32_e32 v38, v27, v38, vcc_lo
	v_cndmask_b32_e32 v35, v35, v28, vcc_lo
	v_add_nc_u32_e32 v27, v38, v35
	v_ashrrev_i32_e32 v27, 1, v27
	v_ashrrev_i32_e32 v28, 31, v27
	v_lshlrev_b64 v[39:40], 2, v[27:28]
	v_add_co_u32 v39, vcc_lo, s4, v39
	v_add_co_ci_u32_e64 v40, null, s5, v40, vcc_lo
	v_cmp_ge_i32_e32 vcc_lo, v35, v38
	global_load_dword v37, v[39:40], off
	s_or_b32 s26, vcc_lo, s26
	s_andn2_b32 exec_lo, exec_lo, s26
	s_cbranch_execnz .LBB45_19
; %bb.20:                               ;   in Loop: Header=BB45_17 Depth=2
	s_or_b32 exec_lo, exec_lo, s26
.LBB45_21:                              ;   in Loop: Header=BB45_17 Depth=2
	s_or_b32 exec_lo, exec_lo, s25
	s_mov_b32 s25, exec_lo
	s_waitcnt vmcnt(0)
	v_cmpx_eq_u32_e64 v37, v36
	s_cbranch_execz .LBB45_16
; %bb.22:                               ;   in Loop: Header=BB45_17 Depth=2
	v_lshlrev_b64 v[36:37], 4, v[25:26]
	v_lshlrev_b64 v[26:27], 4, v[27:28]
	v_add_co_u32 v36, vcc_lo, s8, v36
	v_add_co_ci_u32_e64 v37, null, s9, v37, vcc_lo
	v_add_co_u32 v26, vcc_lo, s8, v26
	v_add_co_ci_u32_e64 v27, null, s9, v27, vcc_lo
	s_clause 0x1
	global_load_dwordx4 v[36:39], v[36:37], off
	global_load_dwordx4 v[40:43], v[26:27], off
	s_waitcnt vmcnt(0)
	v_fma_f64 v[23:24], v[36:37], v[40:41], v[23:24]
	v_fma_f64 v[21:22], v[38:39], v[40:41], v[21:22]
	;; [unrolled: 1-line block ×3, first 2 shown]
	v_fma_f64 v[21:22], v[36:37], -v[42:43], v[21:22]
	s_branch .LBB45_16
.LBB45_23:                              ;   in Loop: Header=BB45_5 Depth=1
	s_or_b32 exec_lo, exec_lo, s24
.LBB45_24:                              ;   in Loop: Header=BB45_5 Depth=1
	s_or_b32 exec_lo, exec_lo, s2
	v_xor_b32_e32 v20, 16, v33
	v_cmp_gt_i32_e32 vcc_lo, 32, v20
	v_cndmask_b32_e32 v20, v33, v20, vcc_lo
	v_lshlrev_b32_e32 v20, 2, v20
	ds_bpermute_b32 v25, v20, v23
	ds_bpermute_b32 v26, v20, v24
	;; [unrolled: 1-line block ×4, first 2 shown]
	s_waitcnt lgkmcnt(2)
	v_add_f64 v[23:24], v[23:24], v[25:26]
	s_waitcnt lgkmcnt(0)
	v_add_f64 v[20:21], v[21:22], v[27:28]
	v_xor_b32_e32 v22, 8, v33
	v_cmp_gt_i32_e32 vcc_lo, 32, v22
	v_cndmask_b32_e32 v22, v33, v22, vcc_lo
	v_lshlrev_b32_e32 v22, 2, v22
	ds_bpermute_b32 v25, v22, v23
	ds_bpermute_b32 v26, v22, v24
	;; [unrolled: 1-line block ×4, first 2 shown]
	s_waitcnt lgkmcnt(2)
	v_add_f64 v[22:23], v[23:24], v[25:26]
	v_xor_b32_e32 v24, 4, v33
	s_waitcnt lgkmcnt(0)
	v_add_f64 v[20:21], v[20:21], v[27:28]
	v_cmp_gt_i32_e32 vcc_lo, 32, v24
	v_cndmask_b32_e32 v24, v33, v24, vcc_lo
	v_lshlrev_b32_e32 v27, 2, v24
	ds_bpermute_b32 v24, v27, v22
	ds_bpermute_b32 v25, v27, v23
	;; [unrolled: 1-line block ×4, first 2 shown]
	s_waitcnt lgkmcnt(2)
	v_add_f64 v[22:23], v[22:23], v[24:25]
	s_waitcnt lgkmcnt(0)
	v_add_f64 v[24:25], v[20:21], v[26:27]
	v_xor_b32_e32 v20, 2, v33
	v_cmp_gt_i32_e32 vcc_lo, 32, v20
	v_cndmask_b32_e32 v20, v33, v20, vcc_lo
	v_lshlrev_b32_e32 v27, 2, v20
	ds_bpermute_b32 v20, v27, v22
	ds_bpermute_b32 v21, v27, v23
	;; [unrolled: 1-line block ×4, first 2 shown]
	s_waitcnt lgkmcnt(2)
	v_add_f64 v[20:21], v[22:23], v[20:21]
	s_waitcnt lgkmcnt(0)
	v_add_f64 v[22:23], v[24:25], v[26:27]
	v_xor_b32_e32 v24, 1, v33
	v_cmp_gt_i32_e32 vcc_lo, 32, v24
	v_cndmask_b32_e32 v24, v33, v24, vcc_lo
	v_lshlrev_b32_e32 v27, 2, v24
	ds_bpermute_b32 v24, v27, v20
	ds_bpermute_b32 v25, v27, v21
	;; [unrolled: 1-line block ×4, first 2 shown]
	s_and_saveexec_b32 s2, s1
	s_cbranch_execz .LBB45_26
; %bb.25:                               ;   in Loop: Header=BB45_5 Depth=1
	v_mul_f64 v[35:36], v[6:7], v[6:7]
	s_waitcnt lgkmcnt(0)
	v_add_f64 v[22:23], v[22:23], v[26:27]
	v_add_f64 v[20:21], v[20:21], v[24:25]
	v_fma_f64 v[35:36], v[4:5], v[4:5], v[35:36]
	v_add_f64 v[2:3], v[2:3], -v[22:23]
	v_add_f64 v[0:1], v[0:1], -v[20:21]
	v_div_scale_f64 v[37:38], null, v[35:36], v[35:36], 1.0
	v_div_scale_f64 v[43:44], vcc_lo, 1.0, v[35:36], 1.0
	v_rcp_f64_e32 v[39:40], v[37:38]
	v_fma_f64 v[41:42], -v[37:38], v[39:40], 1.0
	v_fma_f64 v[39:40], v[39:40], v[41:42], v[39:40]
	v_fma_f64 v[41:42], -v[37:38], v[39:40], 1.0
	v_fma_f64 v[39:40], v[39:40], v[41:42], v[39:40]
	v_mul_f64 v[41:42], v[43:44], v[39:40]
	v_fma_f64 v[37:38], -v[37:38], v[41:42], v[43:44]
	v_div_fmas_f64 v[37:38], v[37:38], v[39:40], v[41:42]
	v_fma_f64 v[39:40], v[4:5], 0, -v[6:7]
	v_fma_f64 v[4:5], v[6:7], 0, v[4:5]
	v_div_fixup_f64 v[26:27], v[37:38], v[35:36], 1.0
	v_mul_f64 v[6:7], v[39:40], v[26:27]
	v_mul_f64 v[4:5], v[4:5], v[26:27]
	v_mul_f64 v[20:21], v[6:7], -v[2:3]
	v_mul_f64 v[6:7], v[6:7], v[0:1]
	v_fma_f64 v[0:1], v[0:1], v[4:5], v[20:21]
	v_fma_f64 v[2:3], v[2:3], v[4:5], v[6:7]
	;; [unrolled: 1-line block ×4, first 2 shown]
	global_store_dwordx4 v[18:19], v[0:3], off
	v_fma_f64 v[15:16], v[2:3], v[2:3], v[4:5]
	v_fma_f64 v[13:14], v[0:1], -v[2:3], v[6:7]
.LBB45_26:                              ;   in Loop: Header=BB45_5 Depth=1
	s_or_b32 exec_lo, exec_lo, s2
                                        ; implicit-def: $vgpr22
.LBB45_27:                              ;   in Loop: Header=BB45_5 Depth=1
	s_andn2_saveexec_b32 s2, s23
	s_cbranch_execz .LBB45_4
; %bb.28:                               ;   in Loop: Header=BB45_5 Depth=1
	s_and_saveexec_b32 s23, s0
	s_cbranch_execz .LBB45_3
; %bb.29:                               ;   in Loop: Header=BB45_5 Depth=1
	s_mov_b32 s25, exec_lo
	s_brev_b32 s24, -2
.LBB45_30:                              ;   Parent Loop BB45_5 Depth=1
                                        ; =>  This Inner Loop Header: Depth=2
	s_ff1_i32_b32 s26, s25
	v_readlane_b32 s27, v22, s26
	s_lshl_b32 s26, 1, s26
	s_andn2_b32 s25, s25, s26
	s_min_i32 s24, s24, s27
	s_cmp_lg_u32 s25, 0
	s_cbranch_scc1 .LBB45_30
; %bb.31:                               ;   in Loop: Header=BB45_5 Depth=1
	v_mbcnt_lo_u32_b32 v0, exec_lo, 0
	s_mov_b32 s25, exec_lo
	v_cmpx_eq_u32_e32 0, v0
	s_xor_b32 s25, exec_lo, s25
	s_cbranch_execz .LBB45_3
; %bb.32:                               ;   in Loop: Header=BB45_5 Depth=1
	v_mov_b32_e32 v0, s24
	global_atomic_smin v32, v0, s[16:17]
	s_branch .LBB45_3
.LBB45_33:
	s_or_b32 exec_lo, exec_lo, s21
.LBB45_34:
	s_or_b32 exec_lo, exec_lo, s20
	v_cmp_eq_u32_e64 s0, 31, v12
	v_cmp_lt_i32_e32 vcc_lo, -1, v11
	s_and_b32 s1, s0, vcc_lo
	s_and_saveexec_b32 s4, s1
	s_cbranch_execz .LBB45_51
; %bb.35:
	v_mov_b32_e32 v12, 0
	v_mul_f64 v[6:7], s[6:7], s[6:7]
	v_add_nc_u32_e32 v10, s3, v10
	v_lshlrev_b64 v[0:1], 4, v[11:12]
	v_add_co_u32 v0, vcc_lo, s8, v0
	v_add_co_ci_u32_e64 v1, null, s9, v1, vcc_lo
	global_load_dwordx4 v[2:5], v[0:1], off
	s_waitcnt vmcnt(0)
	v_add_f64 v[4:5], v[4:5], -v[13:14]
	v_add_f64 v[2:3], v[2:3], -v[15:16]
	v_cmp_eq_f64_e64 s1, 0, v[4:5]
	v_cmp_le_f64_e64 s2, v[2:3], v[6:7]
	v_cmp_neq_f64_e32 vcc_lo, 0, v[4:5]
	s_and_b32 s1, s1, s2
	s_and_saveexec_b32 s2, s1
	s_cbranch_execz .LBB45_40
; %bb.36:
	s_mov_b32 s1, exec_lo
	s_brev_b32 s3, -2
.LBB45_37:                              ; =>This Inner Loop Header: Depth=1
	s_ff1_i32_b32 s5, s1
	v_readlane_b32 s6, v10, s5
	s_lshl_b32 s5, 1, s5
	s_andn2_b32 s1, s1, s5
	s_min_i32 s3, s3, s6
	s_cmp_lg_u32 s1, 0
	s_cbranch_scc1 .LBB45_37
; %bb.38:
	v_mbcnt_lo_u32_b32 v6, exec_lo, 0
	s_mov_b32 s5, exec_lo
	v_cmpx_eq_u32_e32 0, v6
	s_xor_b32 s5, exec_lo, s5
	s_cbranch_execz .LBB45_40
; %bb.39:
	v_mov_b32_e32 v6, 0
	v_mov_b32_e32 v7, s3
	global_atomic_smin v6, v7, s[18:19]
.LBB45_40:
	s_or_b32 exec_lo, exec_lo, s2
	v_cmp_gt_f64_e64 s1, 0, v[2:3]
	v_xor_b32_e32 v6, 0x80000000, v3
	v_xor_b32_e32 v7, 0x80000000, v5
	v_cndmask_b32_e64 v3, v3, v6, s1
	v_cmp_gt_f64_e64 s1, 0, v[4:5]
	v_cndmask_b32_e64 v5, v5, v7, s1
                                        ; implicit-def: $vgpr6_vgpr7
	v_cmp_ngt_f64_e64 s1, v[2:3], v[4:5]
	s_and_saveexec_b32 s2, s1
	s_xor_b32 s1, exec_lo, s2
	s_cbranch_execz .LBB45_44
; %bb.41:
	v_mov_b32_e32 v6, 0
	v_mov_b32_e32 v7, 0
	s_and_saveexec_b32 s2, vcc_lo
	s_cbranch_execz .LBB45_43
; %bb.42:
	v_div_scale_f64 v[6:7], null, v[4:5], v[4:5], v[2:3]
	v_div_scale_f64 v[15:16], vcc_lo, v[2:3], v[4:5], v[2:3]
	v_rcp_f64_e32 v[11:12], v[6:7]
	v_fma_f64 v[13:14], -v[6:7], v[11:12], 1.0
	v_fma_f64 v[11:12], v[11:12], v[13:14], v[11:12]
	v_fma_f64 v[13:14], -v[6:7], v[11:12], 1.0
	v_fma_f64 v[11:12], v[11:12], v[13:14], v[11:12]
	v_mul_f64 v[13:14], v[15:16], v[11:12]
	v_fma_f64 v[6:7], -v[6:7], v[13:14], v[15:16]
	v_div_fmas_f64 v[6:7], v[6:7], v[11:12], v[13:14]
	v_div_fixup_f64 v[2:3], v[6:7], v[4:5], v[2:3]
	v_fma_f64 v[2:3], v[2:3], v[2:3], 1.0
	v_cmp_gt_f64_e32 vcc_lo, 0x10000000, v[2:3]
	v_cndmask_b32_e64 v6, 0, 0x100, vcc_lo
	v_ldexp_f64 v[2:3], v[2:3], v6
	v_rsq_f64_e32 v[6:7], v[2:3]
	v_mul_f64 v[11:12], v[2:3], v[6:7]
	v_mul_f64 v[6:7], v[6:7], 0.5
	v_fma_f64 v[13:14], -v[6:7], v[11:12], 0.5
	v_fma_f64 v[11:12], v[11:12], v[13:14], v[11:12]
	v_fma_f64 v[6:7], v[6:7], v[13:14], v[6:7]
	v_fma_f64 v[13:14], -v[11:12], v[11:12], v[2:3]
	v_fma_f64 v[11:12], v[13:14], v[6:7], v[11:12]
	v_fma_f64 v[13:14], -v[11:12], v[11:12], v[2:3]
	v_fma_f64 v[6:7], v[13:14], v[6:7], v[11:12]
	v_cndmask_b32_e64 v11, 0, 0xffffff80, vcc_lo
	v_cmp_class_f64_e64 vcc_lo, v[2:3], 0x260
	v_ldexp_f64 v[6:7], v[6:7], v11
	v_cndmask_b32_e32 v3, v7, v3, vcc_lo
	v_cndmask_b32_e32 v2, v6, v2, vcc_lo
	v_mul_f64 v[6:7], v[4:5], v[2:3]
.LBB45_43:
	s_or_b32 exec_lo, exec_lo, s2
                                        ; implicit-def: $vgpr2_vgpr3
                                        ; implicit-def: $vgpr4_vgpr5
.LBB45_44:
	s_andn2_saveexec_b32 s1, s1
	s_cbranch_execz .LBB45_46
; %bb.45:
	v_div_scale_f64 v[6:7], null, v[2:3], v[2:3], v[4:5]
	v_div_scale_f64 v[15:16], vcc_lo, v[4:5], v[2:3], v[4:5]
	v_rcp_f64_e32 v[11:12], v[6:7]
	v_fma_f64 v[13:14], -v[6:7], v[11:12], 1.0
	v_fma_f64 v[11:12], v[11:12], v[13:14], v[11:12]
	v_fma_f64 v[13:14], -v[6:7], v[11:12], 1.0
	v_fma_f64 v[11:12], v[11:12], v[13:14], v[11:12]
	v_mul_f64 v[13:14], v[15:16], v[11:12]
	v_fma_f64 v[6:7], -v[6:7], v[13:14], v[15:16]
	v_div_fmas_f64 v[6:7], v[6:7], v[11:12], v[13:14]
	v_div_fixup_f64 v[4:5], v[6:7], v[2:3], v[4:5]
	v_fma_f64 v[4:5], v[4:5], v[4:5], 1.0
	v_cmp_gt_f64_e32 vcc_lo, 0x10000000, v[4:5]
	v_cndmask_b32_e64 v6, 0, 0x100, vcc_lo
	v_ldexp_f64 v[4:5], v[4:5], v6
	v_rsq_f64_e32 v[6:7], v[4:5]
	v_mul_f64 v[11:12], v[4:5], v[6:7]
	v_mul_f64 v[6:7], v[6:7], 0.5
	v_fma_f64 v[13:14], -v[6:7], v[11:12], 0.5
	v_fma_f64 v[11:12], v[11:12], v[13:14], v[11:12]
	v_fma_f64 v[6:7], v[6:7], v[13:14], v[6:7]
	v_fma_f64 v[13:14], -v[11:12], v[11:12], v[4:5]
	v_fma_f64 v[11:12], v[13:14], v[6:7], v[11:12]
	v_fma_f64 v[13:14], -v[11:12], v[11:12], v[4:5]
	v_fma_f64 v[6:7], v[13:14], v[6:7], v[11:12]
	v_cndmask_b32_e64 v11, 0, 0xffffff80, vcc_lo
	v_cmp_class_f64_e64 vcc_lo, v[4:5], 0x260
	v_ldexp_f64 v[6:7], v[6:7], v11
	v_cndmask_b32_e32 v5, v7, v5, vcc_lo
	v_cndmask_b32_e32 v4, v6, v4, vcc_lo
	v_mul_f64 v[6:7], v[2:3], v[4:5]
.LBB45_46:
	s_or_b32 exec_lo, exec_lo, s1
	v_cmp_gt_f64_e32 vcc_lo, 0x10000000, v[6:7]
	v_cmp_eq_f64_e64 s1, 0, v[6:7]
	v_cndmask_b32_e64 v2, 0, 0x100, vcc_lo
	v_ldexp_f64 v[2:3], v[6:7], v2
	v_rsq_f64_e32 v[4:5], v[2:3]
	v_mul_f64 v[11:12], v[2:3], v[4:5]
	v_mul_f64 v[4:5], v[4:5], 0.5
	v_fma_f64 v[13:14], -v[4:5], v[11:12], 0.5
	v_fma_f64 v[11:12], v[11:12], v[13:14], v[11:12]
	v_fma_f64 v[4:5], v[4:5], v[13:14], v[4:5]
	v_fma_f64 v[13:14], -v[11:12], v[11:12], v[2:3]
	v_fma_f64 v[11:12], v[13:14], v[4:5], v[11:12]
	v_fma_f64 v[13:14], -v[11:12], v[11:12], v[2:3]
	v_fma_f64 v[4:5], v[13:14], v[4:5], v[11:12]
	v_cndmask_b32_e64 v11, 0, 0xffffff80, vcc_lo
	v_cmp_class_f64_e64 vcc_lo, v[2:3], 0x260
	v_ldexp_f64 v[11:12], v[4:5], v11
	v_mov_b32_e32 v4, 0
	v_mov_b32_e32 v5, v4
	v_cndmask_b32_e32 v3, v12, v3, vcc_lo
	v_cndmask_b32_e32 v2, v11, v2, vcc_lo
	global_store_dwordx4 v[0:1], v[2:5], off
	s_and_b32 exec_lo, exec_lo, s1
	s_cbranch_execz .LBB45_51
; %bb.47:
	s_mov_b32 s2, exec_lo
	s_brev_b32 s1, -2
.LBB45_48:                              ; =>This Inner Loop Header: Depth=1
	s_ff1_i32_b32 s3, s2
	v_readlane_b32 s5, v10, s3
	s_lshl_b32 s3, 1, s3
	s_andn2_b32 s2, s2, s3
	s_min_i32 s1, s1, s5
	s_cmp_lg_u32 s2, 0
	s_cbranch_scc1 .LBB45_48
; %bb.49:
	v_mbcnt_lo_u32_b32 v0, exec_lo, 0
	s_mov_b32 s2, exec_lo
	v_cmpx_eq_u32_e32 0, v0
	s_xor_b32 s2, exec_lo, s2
	s_cbranch_execz .LBB45_51
; %bb.50:
	v_mov_b32_e32 v0, 0
	v_mov_b32_e32 v1, s1
	global_atomic_smin v0, v1, s[16:17]
.LBB45_51:
	s_or_b32 exec_lo, exec_lo, s4
	s_and_b32 exec_lo, exec_lo, s0
	s_cbranch_execz .LBB45_53
; %bb.52:
	v_add_co_u32 v0, vcc_lo, s12, v8
	v_add_co_ci_u32_e64 v1, null, s13, v9, vcc_lo
	v_mov_b32_e32 v2, 1
	s_waitcnt lgkmcnt(0)
	s_waitcnt_vscnt null, 0x0
	global_store_dword v[0:1], v2, off
.LBB45_53:
	s_endpgm
	.section	.rodata,"a",@progbits
	.p2align	6, 0x0
	.amdhsa_kernel _ZN9rocsparseL23csric0_binsearch_kernelILj256ELj32ELb0E21rocsparse_complex_numIdEEEviPKiS4_PT2_S4_PiS4_S7_S7_d21rocsparse_index_base_
		.amdhsa_group_segment_fixed_size 0
		.amdhsa_private_segment_fixed_size 0
		.amdhsa_kernarg_size 84
		.amdhsa_user_sgpr_count 6
		.amdhsa_user_sgpr_private_segment_buffer 1
		.amdhsa_user_sgpr_dispatch_ptr 0
		.amdhsa_user_sgpr_queue_ptr 0
		.amdhsa_user_sgpr_kernarg_segment_ptr 1
		.amdhsa_user_sgpr_dispatch_id 0
		.amdhsa_user_sgpr_flat_scratch_init 0
		.amdhsa_user_sgpr_private_segment_size 0
		.amdhsa_wavefront_size32 1
		.amdhsa_uses_dynamic_stack 0
		.amdhsa_system_sgpr_private_segment_wavefront_offset 0
		.amdhsa_system_sgpr_workgroup_id_x 1
		.amdhsa_system_sgpr_workgroup_id_y 0
		.amdhsa_system_sgpr_workgroup_id_z 0
		.amdhsa_system_sgpr_workgroup_info 0
		.amdhsa_system_vgpr_workitem_id 0
		.amdhsa_next_free_vgpr 45
		.amdhsa_next_free_sgpr 28
		.amdhsa_reserve_vcc 1
		.amdhsa_reserve_flat_scratch 0
		.amdhsa_float_round_mode_32 0
		.amdhsa_float_round_mode_16_64 0
		.amdhsa_float_denorm_mode_32 3
		.amdhsa_float_denorm_mode_16_64 3
		.amdhsa_dx10_clamp 1
		.amdhsa_ieee_mode 1
		.amdhsa_fp16_overflow 0
		.amdhsa_workgroup_processor_mode 1
		.amdhsa_memory_ordered 1
		.amdhsa_forward_progress 1
		.amdhsa_shared_vgpr_count 0
		.amdhsa_exception_fp_ieee_invalid_op 0
		.amdhsa_exception_fp_denorm_src 0
		.amdhsa_exception_fp_ieee_div_zero 0
		.amdhsa_exception_fp_ieee_overflow 0
		.amdhsa_exception_fp_ieee_underflow 0
		.amdhsa_exception_fp_ieee_inexact 0
		.amdhsa_exception_int_div_zero 0
	.end_amdhsa_kernel
	.section	.text._ZN9rocsparseL23csric0_binsearch_kernelILj256ELj32ELb0E21rocsparse_complex_numIdEEEviPKiS4_PT2_S4_PiS4_S7_S7_d21rocsparse_index_base_,"axG",@progbits,_ZN9rocsparseL23csric0_binsearch_kernelILj256ELj32ELb0E21rocsparse_complex_numIdEEEviPKiS4_PT2_S4_PiS4_S7_S7_d21rocsparse_index_base_,comdat
.Lfunc_end45:
	.size	_ZN9rocsparseL23csric0_binsearch_kernelILj256ELj32ELb0E21rocsparse_complex_numIdEEEviPKiS4_PT2_S4_PiS4_S7_S7_d21rocsparse_index_base_, .Lfunc_end45-_ZN9rocsparseL23csric0_binsearch_kernelILj256ELj32ELb0E21rocsparse_complex_numIdEEEviPKiS4_PT2_S4_PiS4_S7_S7_d21rocsparse_index_base_
                                        ; -- End function
	.set _ZN9rocsparseL23csric0_binsearch_kernelILj256ELj32ELb0E21rocsparse_complex_numIdEEEviPKiS4_PT2_S4_PiS4_S7_S7_d21rocsparse_index_base_.num_vgpr, 45
	.set _ZN9rocsparseL23csric0_binsearch_kernelILj256ELj32ELb0E21rocsparse_complex_numIdEEEviPKiS4_PT2_S4_PiS4_S7_S7_d21rocsparse_index_base_.num_agpr, 0
	.set _ZN9rocsparseL23csric0_binsearch_kernelILj256ELj32ELb0E21rocsparse_complex_numIdEEEviPKiS4_PT2_S4_PiS4_S7_S7_d21rocsparse_index_base_.numbered_sgpr, 28
	.set _ZN9rocsparseL23csric0_binsearch_kernelILj256ELj32ELb0E21rocsparse_complex_numIdEEEviPKiS4_PT2_S4_PiS4_S7_S7_d21rocsparse_index_base_.num_named_barrier, 0
	.set _ZN9rocsparseL23csric0_binsearch_kernelILj256ELj32ELb0E21rocsparse_complex_numIdEEEviPKiS4_PT2_S4_PiS4_S7_S7_d21rocsparse_index_base_.private_seg_size, 0
	.set _ZN9rocsparseL23csric0_binsearch_kernelILj256ELj32ELb0E21rocsparse_complex_numIdEEEviPKiS4_PT2_S4_PiS4_S7_S7_d21rocsparse_index_base_.uses_vcc, 1
	.set _ZN9rocsparseL23csric0_binsearch_kernelILj256ELj32ELb0E21rocsparse_complex_numIdEEEviPKiS4_PT2_S4_PiS4_S7_S7_d21rocsparse_index_base_.uses_flat_scratch, 0
	.set _ZN9rocsparseL23csric0_binsearch_kernelILj256ELj32ELb0E21rocsparse_complex_numIdEEEviPKiS4_PT2_S4_PiS4_S7_S7_d21rocsparse_index_base_.has_dyn_sized_stack, 0
	.set _ZN9rocsparseL23csric0_binsearch_kernelILj256ELj32ELb0E21rocsparse_complex_numIdEEEviPKiS4_PT2_S4_PiS4_S7_S7_d21rocsparse_index_base_.has_recursion, 0
	.set _ZN9rocsparseL23csric0_binsearch_kernelILj256ELj32ELb0E21rocsparse_complex_numIdEEEviPKiS4_PT2_S4_PiS4_S7_S7_d21rocsparse_index_base_.has_indirect_call, 0
	.section	.AMDGPU.csdata,"",@progbits
; Kernel info:
; codeLenInByte = 2980
; TotalNumSgprs: 30
; NumVgprs: 45
; ScratchSize: 0
; MemoryBound: 1
; FloatMode: 240
; IeeeMode: 1
; LDSByteSize: 0 bytes/workgroup (compile time only)
; SGPRBlocks: 0
; VGPRBlocks: 5
; NumSGPRsForWavesPerEU: 30
; NumVGPRsForWavesPerEU: 45
; Occupancy: 16
; WaveLimiterHint : 1
; COMPUTE_PGM_RSRC2:SCRATCH_EN: 0
; COMPUTE_PGM_RSRC2:USER_SGPR: 6
; COMPUTE_PGM_RSRC2:TRAP_HANDLER: 0
; COMPUTE_PGM_RSRC2:TGID_X_EN: 1
; COMPUTE_PGM_RSRC2:TGID_Y_EN: 0
; COMPUTE_PGM_RSRC2:TGID_Z_EN: 0
; COMPUTE_PGM_RSRC2:TIDIG_COMP_CNT: 0
	.section	.text._ZN9rocsparseL18csric0_hash_kernelILj256ELj64ELj1E21rocsparse_complex_numIdEEEviPKiS4_PT2_S4_PiS4_S7_S7_d21rocsparse_index_base_,"axG",@progbits,_ZN9rocsparseL18csric0_hash_kernelILj256ELj64ELj1E21rocsparse_complex_numIdEEEviPKiS4_PT2_S4_PiS4_S7_S7_d21rocsparse_index_base_,comdat
	.globl	_ZN9rocsparseL18csric0_hash_kernelILj256ELj64ELj1E21rocsparse_complex_numIdEEEviPKiS4_PT2_S4_PiS4_S7_S7_d21rocsparse_index_base_ ; -- Begin function _ZN9rocsparseL18csric0_hash_kernelILj256ELj64ELj1E21rocsparse_complex_numIdEEEviPKiS4_PT2_S4_PiS4_S7_S7_d21rocsparse_index_base_
	.p2align	8
	.type	_ZN9rocsparseL18csric0_hash_kernelILj256ELj64ELj1E21rocsparse_complex_numIdEEEviPKiS4_PT2_S4_PiS4_S7_S7_d21rocsparse_index_base_,@function
_ZN9rocsparseL18csric0_hash_kernelILj256ELj64ELj1E21rocsparse_complex_numIdEEEviPKiS4_PT2_S4_PiS4_S7_S7_d21rocsparse_index_base_: ; @_ZN9rocsparseL18csric0_hash_kernelILj256ELj64ELj1E21rocsparse_complex_numIdEEEviPKiS4_PT2_S4_PiS4_S7_S7_d21rocsparse_index_base_
; %bb.0:
	s_load_dword s0, s[4:5], 0x0
	v_and_b32_e32 v1, 0xc0, v0
	v_lshrrev_b32_e32 v2, 6, v0
	s_lshl_b32 s1, s6, 2
	v_and_b32_e32 v28, 63, v0
	v_mov_b32_e32 v3, -1
	v_lshl_or_b32 v29, v1, 2, 0x400
	v_and_or_b32 v0, 0x3fffffc, s1, v2
	v_lshl_or_b32 v2, v28, 2, v29
	ds_write_b32 v2, v3
	s_waitcnt lgkmcnt(0)
	buffer_gl0_inv
	v_cmp_gt_i32_e32 vcc_lo, s0, v0
	s_and_saveexec_b32 s0, vcc_lo
	s_cbranch_execz .LBB46_52
; %bb.1:
	s_load_dwordx8 s[8:15], s[4:5], 0x28
	v_lshlrev_b32_e32 v0, 2, v0
	s_clause 0x1
	s_load_dwordx8 s[16:23], s[4:5], 0x8
	s_load_dword s2, s[4:5], 0x50
	v_lshlrev_b32_e32 v30, 2, v1
	s_mov_b32 s0, exec_lo
	s_waitcnt lgkmcnt(0)
	global_load_dword v10, v0, s[10:11]
	s_waitcnt vmcnt(0)
	v_ashrrev_i32_e32 v11, 31, v10
	v_lshlrev_b64 v[8:9], 2, v[10:11]
	v_add_co_u32 v2, vcc_lo, s16, v8
	v_add_co_ci_u32_e64 v3, null, s17, v9, vcc_lo
	v_add_co_u32 v4, vcc_lo, s22, v8
	v_add_co_ci_u32_e64 v5, null, s23, v9, vcc_lo
	global_load_dwordx2 v[2:3], v[2:3], off
	global_load_dword v11, v[4:5], off
	s_waitcnt vmcnt(1)
	v_subrev_nc_u32_e32 v12, s2, v2
	v_subrev_nc_u32_e32 v2, s2, v3
	v_add_nc_u32_e32 v0, v12, v28
	v_cmpx_lt_i32_e64 v0, v2
	s_cbranch_execz .LBB46_11
; %bb.2:
	v_mov_b32_e32 v3, -1
	s_mov_b32 s1, 0
	s_branch .LBB46_4
.LBB46_3:                               ;   in Loop: Header=BB46_4 Depth=1
	s_or_b32 exec_lo, exec_lo, s3
	v_add_nc_u32_e32 v0, 64, v0
	v_cmp_ge_i32_e32 vcc_lo, v0, v2
	s_or_b32 s1, vcc_lo, s1
	s_andn2_b32 exec_lo, exec_lo, s1
	s_cbranch_execz .LBB46_11
.LBB46_4:                               ; =>This Loop Header: Depth=1
                                        ;     Child Loop BB46_7 Depth 2
	v_ashrrev_i32_e32 v1, 31, v0
	s_mov_b32 s3, exec_lo
	v_lshlrev_b64 v[4:5], 2, v[0:1]
	v_add_co_u32 v4, vcc_lo, s18, v4
	v_add_co_ci_u32_e64 v5, null, s19, v5, vcc_lo
	global_load_dword v1, v[4:5], off
	s_waitcnt vmcnt(0)
	v_mul_lo_u32 v4, v1, 39
	v_and_b32_e32 v4, 63, v4
	v_lshl_add_u32 v5, v4, 2, v29
	ds_read_b32 v6, v5
	s_waitcnt lgkmcnt(0)
	v_cmpx_ne_u32_e64 v6, v1
	s_cbranch_execz .LBB46_3
; %bb.5:                                ;   in Loop: Header=BB46_4 Depth=1
	s_mov_b32 s6, 0
                                        ; implicit-def: $sgpr7
                                        ; implicit-def: $sgpr11
                                        ; implicit-def: $sgpr10
	s_inst_prefetch 0x1
	s_branch .LBB46_7
	.p2align	6
.LBB46_6:                               ;   in Loop: Header=BB46_7 Depth=2
	s_or_b32 exec_lo, exec_lo, s24
	s_and_b32 s24, exec_lo, s11
	s_or_b32 s6, s24, s6
	s_andn2_b32 s7, s7, exec_lo
	s_and_b32 s24, s10, exec_lo
	s_or_b32 s7, s7, s24
	s_andn2_b32 exec_lo, exec_lo, s6
	s_cbranch_execz .LBB46_9
.LBB46_7:                               ;   Parent Loop BB46_4 Depth=1
                                        ; =>  This Inner Loop Header: Depth=2
	ds_cmpst_rtn_b32 v5, v5, v3, v1
	v_mov_b32_e32 v6, v4
	s_or_b32 s10, s10, exec_lo
	s_or_b32 s11, s11, exec_lo
                                        ; implicit-def: $vgpr4
	s_waitcnt lgkmcnt(0)
	v_cmp_ne_u32_e32 vcc_lo, -1, v5
                                        ; implicit-def: $vgpr5
	s_and_saveexec_b32 s24, vcc_lo
	s_cbranch_execz .LBB46_6
; %bb.8:                                ;   in Loop: Header=BB46_7 Depth=2
	v_add_nc_u32_e32 v4, 1, v6
	s_andn2_b32 s11, s11, exec_lo
	s_andn2_b32 s10, s10, exec_lo
	v_and_b32_e32 v4, 63, v4
	v_lshl_add_u32 v5, v4, 2, v29
	ds_read_b32 v7, v5
	s_waitcnt lgkmcnt(0)
	v_cmp_eq_u32_e32 vcc_lo, v7, v1
	s_and_b32 s25, vcc_lo, exec_lo
	s_or_b32 s11, s11, s25
	s_branch .LBB46_6
.LBB46_9:                               ;   in Loop: Header=BB46_4 Depth=1
	s_inst_prefetch 0x2
	s_or_b32 exec_lo, exec_lo, s6
	s_and_saveexec_b32 s6, s7
	s_xor_b32 s6, exec_lo, s6
	s_cbranch_execz .LBB46_3
; %bb.10:                               ;   in Loop: Header=BB46_4 Depth=1
	v_lshl_add_u32 v1, v6, 2, v30
	ds_write_b32 v1, v0
	s_branch .LBB46_3
.LBB46_11:
	s_or_b32 exec_lo, exec_lo, s0
	v_mov_b32_e32 v14, 0
	v_mov_b32_e32 v16, 0
	;; [unrolled: 1-line block ×4, first 2 shown]
	s_mov_b32 s3, exec_lo
	s_waitcnt vmcnt(0) lgkmcnt(0)
	buffer_gl0_inv
	v_cmpx_lt_i32_e64 v12, v11
	s_cbranch_execz .LBB46_33
; %bb.12:
	v_mov_b32_e32 v14, 0
	v_mov_b32_e32 v16, 0
	v_add_nc_u32_e32 v31, -1, v11
	v_subrev_nc_u32_e32 v32, s2, v28
	v_cmp_eq_u32_e64 s0, 63, v28
	v_mov_b32_e32 v15, 0
	v_mov_b32_e32 v17, 0
	v_mbcnt_lo_u32_b32 v33, -1, 0
	s_mov_b32 s6, 0
	s_branch .LBB46_15
.LBB46_13:                              ;   in Loop: Header=BB46_15 Depth=1
	s_or_b32 exec_lo, exec_lo, s7
	v_add_nc_u32_e32 v12, 1, v12
	v_cmp_ge_i32_e32 vcc_lo, v12, v11
	s_orn2_b32 s7, vcc_lo, exec_lo
.LBB46_14:                              ;   in Loop: Header=BB46_15 Depth=1
	s_or_b32 exec_lo, exec_lo, s1
	s_and_b32 s1, exec_lo, s7
	s_or_b32 s6, s1, s6
	s_andn2_b32 exec_lo, exec_lo, s6
	s_cbranch_execz .LBB46_32
.LBB46_15:                              ; =>This Loop Header: Depth=1
                                        ;     Child Loop BB46_16 Depth 2
                                        ;     Child Loop BB46_22 Depth 2
                                        ;       Child Loop BB46_25 Depth 3
	v_ashrrev_i32_e32 v13, 31, v12
	s_mov_b32 s1, 0
	v_lshlrev_b64 v[0:1], 2, v[12:13]
	v_lshlrev_b64 v[2:3], 4, v[12:13]
	v_add_co_u32 v0, vcc_lo, s18, v0
	v_add_co_ci_u32_e64 v1, null, s19, v1, vcc_lo
	v_add_co_u32 v18, vcc_lo, s20, v2
	v_add_co_ci_u32_e64 v19, null, s21, v3, vcc_lo
	global_load_dword v0, v[0:1], off
	s_waitcnt vmcnt(0)
	v_subrev_nc_u32_e32 v0, s2, v0
	v_ashrrev_i32_e32 v1, 31, v0
	v_lshlrev_b64 v[4:5], 2, v[0:1]
	v_add_co_u32 v6, vcc_lo, s16, v4
	v_add_co_ci_u32_e64 v7, null, s17, v5, vcc_lo
	v_add_co_u32 v20, vcc_lo, s22, v4
	v_add_co_ci_u32_e64 v21, null, s23, v5, vcc_lo
	global_load_dwordx4 v[0:3], v[18:19], off
	global_load_dword v13, v[6:7], off
	global_load_dword v6, v[20:21], off
	v_add_co_u32 v4, vcc_lo, s8, v4
	v_add_co_ci_u32_e64 v5, null, s9, v5, vcc_lo
.LBB46_16:                              ;   Parent Loop BB46_15 Depth=1
                                        ; =>  This Inner Loop Header: Depth=2
	global_load_dword v7, v[4:5], off glc dlc
	s_waitcnt vmcnt(0)
	v_cmp_ne_u32_e32 vcc_lo, 0, v7
	s_or_b32 s1, vcc_lo, s1
	s_andn2_b32 exec_lo, exec_lo, s1
	s_cbranch_execnz .LBB46_16
; %bb.17:                               ;   in Loop: Header=BB46_15 Depth=1
	s_or_b32 exec_lo, exec_lo, s1
	v_cmp_eq_u32_e32 vcc_lo, -1, v6
	buffer_gl1_inv
	buffer_gl0_inv
	s_mov_b32 s7, -1
	s_waitcnt lgkmcnt(3)
	v_cndmask_b32_e32 v24, v6, v31, vcc_lo
	s_waitcnt lgkmcnt(2)
	v_ashrrev_i32_e32 v25, 31, v24
	v_lshlrev_b64 v[4:5], 4, v[24:25]
	v_add_co_u32 v4, vcc_lo, s20, v4
	v_add_co_ci_u32_e64 v5, null, s21, v5, vcc_lo
	global_load_dwordx4 v[4:7], v[4:5], off
	s_waitcnt vmcnt(0)
	v_cmp_neq_f64_e32 vcc_lo, 0, v[4:5]
	v_cmp_neq_f64_e64 s1, 0, v[6:7]
	s_or_b32 s10, vcc_lo, s1
	s_and_saveexec_b32 s1, s10
	s_cbranch_execz .LBB46_14
; %bb.18:                               ;   in Loop: Header=BB46_15 Depth=1
	v_mov_b32_e32 v20, 0
	v_mov_b32_e32 v22, 0
	v_add_nc_u32_e32 v25, v32, v13
	v_mov_b32_e32 v21, 0
	v_mov_b32_e32 v23, 0
	s_mov_b32 s7, exec_lo
	v_cmpx_lt_i32_e64 v25, v24
	s_cbranch_execz .LBB46_30
; %bb.19:                               ;   in Loop: Header=BB46_15 Depth=1
	v_mov_b32_e32 v20, 0
	v_mov_b32_e32 v22, 0
	;; [unrolled: 1-line block ×4, first 2 shown]
	s_mov_b32 s10, 0
	s_branch .LBB46_22
.LBB46_20:                              ;   in Loop: Header=BB46_22 Depth=2
	s_or_b32 exec_lo, exec_lo, s24
.LBB46_21:                              ;   in Loop: Header=BB46_22 Depth=2
	s_or_b32 exec_lo, exec_lo, s11
	v_add_nc_u32_e32 v25, 64, v25
	v_cmp_ge_i32_e32 vcc_lo, v25, v24
	s_or_b32 s10, vcc_lo, s10
	s_andn2_b32 exec_lo, exec_lo, s10
	s_cbranch_execz .LBB46_29
.LBB46_22:                              ;   Parent Loop BB46_15 Depth=1
                                        ; =>  This Loop Header: Depth=2
                                        ;       Child Loop BB46_25 Depth 3
	s_waitcnt lgkmcnt(1)
	v_ashrrev_i32_e32 v26, 31, v25
	s_mov_b32 s11, exec_lo
	v_lshlrev_b64 v[34:35], 2, v[25:26]
	v_add_co_u32 v34, vcc_lo, s18, v34
	v_add_co_ci_u32_e64 v35, null, s19, v35, vcc_lo
	global_load_dword v13, v[34:35], off
	s_waitcnt vmcnt(0) lgkmcnt(0)
	v_mul_lo_u32 v27, v13, 39
	v_and_b32_e32 v35, 63, v27
	v_lshl_add_u32 v27, v35, 2, v29
	ds_read_b32 v34, v27
	s_waitcnt lgkmcnt(0)
	v_cmpx_ne_u32_e32 -1, v34
	s_cbranch_execz .LBB46_21
; %bb.23:                               ;   in Loop: Header=BB46_22 Depth=2
	s_mov_b32 s25, 0
                                        ; implicit-def: $sgpr24
                                        ; implicit-def: $sgpr27
                                        ; implicit-def: $sgpr26
	s_inst_prefetch 0x1
	s_branch .LBB46_25
	.p2align	6
.LBB46_24:                              ;   in Loop: Header=BB46_25 Depth=3
	s_or_b32 exec_lo, exec_lo, s28
	s_and_b32 s28, exec_lo, s27
	s_or_b32 s25, s28, s25
	s_andn2_b32 s24, s24, exec_lo
	s_and_b32 s28, s26, exec_lo
	s_or_b32 s24, s24, s28
	s_andn2_b32 exec_lo, exec_lo, s25
	s_cbranch_execz .LBB46_27
.LBB46_25:                              ;   Parent Loop BB46_15 Depth=1
                                        ;     Parent Loop BB46_22 Depth=2
                                        ; =>    This Inner Loop Header: Depth=3
	v_mov_b32_e32 v27, v35
	v_cmp_ne_u32_e32 vcc_lo, v34, v13
	s_or_b32 s26, s26, exec_lo
	s_or_b32 s27, s27, exec_lo
                                        ; implicit-def: $vgpr35
                                        ; implicit-def: $vgpr34
	s_and_saveexec_b32 s28, vcc_lo
	s_cbranch_execz .LBB46_24
; %bb.26:                               ;   in Loop: Header=BB46_25 Depth=3
	v_add_nc_u32_e32 v34, 1, v27
	s_andn2_b32 s27, s27, exec_lo
	s_andn2_b32 s26, s26, exec_lo
	v_and_b32_e32 v35, 63, v34
	v_lshl_add_u32 v34, v35, 2, v29
	ds_read_b32 v34, v34
	s_waitcnt lgkmcnt(0)
	v_cmp_eq_u32_e32 vcc_lo, -1, v34
	s_and_b32 s29, vcc_lo, exec_lo
	s_or_b32 s27, s27, s29
	s_branch .LBB46_24
.LBB46_27:                              ;   in Loop: Header=BB46_22 Depth=2
	s_inst_prefetch 0x2
	s_or_b32 exec_lo, exec_lo, s25
	s_and_saveexec_b32 s25, s24
	s_xor_b32 s24, exec_lo, s25
	s_cbranch_execz .LBB46_20
; %bb.28:                               ;   in Loop: Header=BB46_22 Depth=2
	v_lshl_add_u32 v13, v27, 2, v30
	v_lshlrev_b64 v[26:27], 4, v[25:26]
	ds_read_b32 v34, v13
	v_add_co_u32 v26, vcc_lo, s20, v26
	v_add_co_ci_u32_e64 v27, null, s21, v27, vcc_lo
	s_waitcnt lgkmcnt(0)
	v_ashrrev_i32_e32 v35, 31, v34
	v_lshlrev_b64 v[34:35], 4, v[34:35]
	v_add_co_u32 v38, vcc_lo, s20, v34
	v_add_co_ci_u32_e64 v39, null, s21, v35, vcc_lo
	s_clause 0x1
	global_load_dwordx4 v[34:37], v[26:27], off
	global_load_dwordx4 v[38:41], v[38:39], off
	s_waitcnt vmcnt(0)
	v_fma_f64 v[22:23], v[34:35], v[38:39], v[22:23]
	v_fma_f64 v[20:21], v[36:37], v[38:39], v[20:21]
	;; [unrolled: 1-line block ×3, first 2 shown]
	v_fma_f64 v[20:21], v[34:35], -v[40:41], v[20:21]
	s_branch .LBB46_20
.LBB46_29:                              ;   in Loop: Header=BB46_15 Depth=1
	s_or_b32 exec_lo, exec_lo, s10
.LBB46_30:                              ;   in Loop: Header=BB46_15 Depth=1
	s_or_b32 exec_lo, exec_lo, s7
	v_or_b32_e32 v13, 32, v33
	v_cmp_gt_i32_e32 vcc_lo, 32, v13
	v_cndmask_b32_e32 v13, v33, v13, vcc_lo
	v_lshlrev_b32_e32 v13, 2, v13
	ds_bpermute_b32 v24, v13, v22
	ds_bpermute_b32 v25, v13, v23
	s_waitcnt lgkmcnt(3)
	ds_bpermute_b32 v26, v13, v20
	s_waitcnt lgkmcnt(3)
	ds_bpermute_b32 v27, v13, v21
	v_xor_b32_e32 v13, 16, v33
	v_cmp_gt_i32_e32 vcc_lo, 32, v13
	v_cndmask_b32_e32 v13, v33, v13, vcc_lo
	v_lshlrev_b32_e32 v13, 2, v13
	s_waitcnt lgkmcnt(2)
	v_add_f64 v[22:23], v[22:23], v[24:25]
	s_waitcnt lgkmcnt(0)
	v_add_f64 v[20:21], v[20:21], v[26:27]
	ds_bpermute_b32 v24, v13, v22
	ds_bpermute_b32 v25, v13, v23
	ds_bpermute_b32 v26, v13, v20
	ds_bpermute_b32 v27, v13, v21
	v_xor_b32_e32 v13, 8, v33
	v_cmp_gt_i32_e32 vcc_lo, 32, v13
	v_cndmask_b32_e32 v13, v33, v13, vcc_lo
	v_lshlrev_b32_e32 v13, 2, v13
	s_waitcnt lgkmcnt(2)
	v_add_f64 v[22:23], v[22:23], v[24:25]
	s_waitcnt lgkmcnt(0)
	v_add_f64 v[20:21], v[20:21], v[26:27]
	ds_bpermute_b32 v24, v13, v22
	ds_bpermute_b32 v25, v13, v23
	ds_bpermute_b32 v26, v13, v20
	ds_bpermute_b32 v27, v13, v21
	v_xor_b32_e32 v13, 4, v33
	v_cmp_gt_i32_e32 vcc_lo, 32, v13
	v_cndmask_b32_e32 v13, v33, v13, vcc_lo
	v_lshlrev_b32_e32 v13, 2, v13
	s_waitcnt lgkmcnt(2)
	v_add_f64 v[22:23], v[22:23], v[24:25]
	s_waitcnt lgkmcnt(0)
	v_add_f64 v[20:21], v[20:21], v[26:27]
	ds_bpermute_b32 v24, v13, v22
	ds_bpermute_b32 v25, v13, v23
	ds_bpermute_b32 v26, v13, v20
	ds_bpermute_b32 v27, v13, v21
	v_xor_b32_e32 v13, 2, v33
	v_cmp_gt_i32_e32 vcc_lo, 32, v13
	v_cndmask_b32_e32 v13, v33, v13, vcc_lo
	v_lshlrev_b32_e32 v13, 2, v13
	s_waitcnt lgkmcnt(2)
	v_add_f64 v[22:23], v[22:23], v[24:25]
	s_waitcnt lgkmcnt(0)
	v_add_f64 v[24:25], v[20:21], v[26:27]
	ds_bpermute_b32 v20, v13, v22
	ds_bpermute_b32 v21, v13, v23
	ds_bpermute_b32 v26, v13, v24
	ds_bpermute_b32 v27, v13, v25
	v_xor_b32_e32 v13, 1, v33
	v_cmp_gt_i32_e32 vcc_lo, 32, v13
	v_cndmask_b32_e32 v13, v33, v13, vcc_lo
	v_lshlrev_b32_e32 v13, 2, v13
	s_waitcnt lgkmcnt(2)
	v_add_f64 v[20:21], v[22:23], v[20:21]
	s_waitcnt lgkmcnt(0)
	v_add_f64 v[22:23], v[24:25], v[26:27]
	ds_bpermute_b32 v24, v13, v20
	ds_bpermute_b32 v25, v13, v21
	ds_bpermute_b32 v26, v13, v22
	ds_bpermute_b32 v27, v13, v23
	s_and_saveexec_b32 s7, s0
	s_cbranch_execz .LBB46_13
; %bb.31:                               ;   in Loop: Header=BB46_15 Depth=1
	v_mul_f64 v[34:35], v[6:7], v[6:7]
	s_waitcnt lgkmcnt(0)
	v_add_f64 v[22:23], v[22:23], v[26:27]
	v_add_f64 v[20:21], v[20:21], v[24:25]
	v_fma_f64 v[34:35], v[4:5], v[4:5], v[34:35]
	v_add_f64 v[2:3], v[2:3], -v[22:23]
	v_add_f64 v[0:1], v[0:1], -v[20:21]
	v_div_scale_f64 v[36:37], null, v[34:35], v[34:35], 1.0
	v_div_scale_f64 v[42:43], vcc_lo, 1.0, v[34:35], 1.0
	v_rcp_f64_e32 v[38:39], v[36:37]
	v_fma_f64 v[40:41], -v[36:37], v[38:39], 1.0
	v_fma_f64 v[38:39], v[38:39], v[40:41], v[38:39]
	v_fma_f64 v[40:41], -v[36:37], v[38:39], 1.0
	v_fma_f64 v[38:39], v[38:39], v[40:41], v[38:39]
	v_mul_f64 v[40:41], v[42:43], v[38:39]
	v_fma_f64 v[36:37], -v[36:37], v[40:41], v[42:43]
	v_div_fmas_f64 v[36:37], v[36:37], v[38:39], v[40:41]
	v_fma_f64 v[38:39], v[4:5], 0, -v[6:7]
	v_fma_f64 v[4:5], v[6:7], 0, v[4:5]
	v_div_fixup_f64 v[26:27], v[36:37], v[34:35], 1.0
	v_mul_f64 v[6:7], v[38:39], v[26:27]
	v_mul_f64 v[4:5], v[4:5], v[26:27]
	v_mul_f64 v[20:21], v[6:7], -v[2:3]
	v_mul_f64 v[6:7], v[6:7], v[0:1]
	v_fma_f64 v[0:1], v[0:1], v[4:5], v[20:21]
	v_fma_f64 v[2:3], v[2:3], v[4:5], v[6:7]
	;; [unrolled: 1-line block ×4, first 2 shown]
	global_store_dwordx4 v[18:19], v[0:3], off
	v_fma_f64 v[16:17], v[2:3], v[2:3], v[4:5]
	v_fma_f64 v[14:15], v[0:1], -v[2:3], v[6:7]
	s_branch .LBB46_13
.LBB46_32:
	s_or_b32 exec_lo, exec_lo, s6
.LBB46_33:
	s_or_b32 exec_lo, exec_lo, s3
	v_cmp_eq_u32_e64 s0, 63, v28
	v_cmp_lt_i32_e32 vcc_lo, -1, v11
	s_and_b32 s1, s0, vcc_lo
	s_and_saveexec_b32 s3, s1
	s_cbranch_execz .LBB46_50
; %bb.34:
	v_mov_b32_e32 v12, 0
	s_load_dwordx2 s[4:5], s[4:5], 0x48
	v_lshlrev_b64 v[0:1], 4, v[11:12]
	v_add_co_u32 v0, vcc_lo, s20, v0
	v_add_co_ci_u32_e64 v1, null, s21, v1, vcc_lo
	global_load_dwordx4 v[2:5], v[0:1], off
	s_waitcnt lgkmcnt(0)
	v_mul_f64 v[11:12], s[4:5], s[4:5]
	s_waitcnt vmcnt(0)
	v_add_f64 v[2:3], v[2:3], -v[16:17]
	v_add_f64 v[6:7], v[4:5], -v[14:15]
	v_cmp_le_f64_e32 vcc_lo, v[2:3], v[11:12]
	v_cmp_eq_f64_e64 s1, 0, v[6:7]
	v_add_nc_u32_e32 v12, s2, v10
	s_and_b32 s2, vcc_lo, s1
	s_and_saveexec_b32 s1, s2
	s_cbranch_execz .LBB46_39
; %bb.35:
	s_mov_b32 s4, exec_lo
	s_brev_b32 s2, -2
.LBB46_36:                              ; =>This Inner Loop Header: Depth=1
	s_ff1_i32_b32 s5, s4
	v_readlane_b32 s6, v12, s5
	s_lshl_b32 s5, 1, s5
	s_andn2_b32 s4, s4, s5
	s_min_i32 s2, s2, s6
	s_cmp_lg_u32 s4, 0
	s_cbranch_scc1 .LBB46_36
; %bb.37:
	v_mbcnt_lo_u32_b32 v4, exec_lo, 0
	s_mov_b32 s4, exec_lo
	v_cmpx_eq_u32_e32 0, v4
	s_xor_b32 s4, exec_lo, s4
	s_cbranch_execz .LBB46_39
; %bb.38:
	v_mov_b32_e32 v4, 0
	v_mov_b32_e32 v5, s2
	global_atomic_smin v4, v5, s[14:15]
.LBB46_39:
	s_or_b32 exec_lo, exec_lo, s1
	v_cmp_gt_f64_e32 vcc_lo, 0, v[2:3]
	v_xor_b32_e32 v4, 0x80000000, v3
	v_xor_b32_e32 v5, 0x80000000, v7
	s_mov_b32 s1, exec_lo
                                        ; implicit-def: $vgpr10_vgpr11
	v_cndmask_b32_e32 v3, v3, v4, vcc_lo
	v_cmp_gt_f64_e32 vcc_lo, 0, v[6:7]
	v_mov_b32_e32 v4, v6
	v_cndmask_b32_e32 v5, v7, v5, vcc_lo
	v_cmpx_ngt_f64_e32 v[2:3], v[4:5]
	s_xor_b32 s1, exec_lo, s1
	s_cbranch_execz .LBB46_43
; %bb.40:
	v_mov_b32_e32 v10, 0
	v_mov_b32_e32 v11, 0
	s_mov_b32 s2, exec_lo
	v_cmpx_neq_f64_e32 0, v[6:7]
	s_cbranch_execz .LBB46_42
; %bb.41:
	v_div_scale_f64 v[6:7], null, v[4:5], v[4:5], v[2:3]
	v_div_scale_f64 v[15:16], vcc_lo, v[2:3], v[4:5], v[2:3]
	v_rcp_f64_e32 v[10:11], v[6:7]
	v_fma_f64 v[13:14], -v[6:7], v[10:11], 1.0
	v_fma_f64 v[10:11], v[10:11], v[13:14], v[10:11]
	v_fma_f64 v[13:14], -v[6:7], v[10:11], 1.0
	v_fma_f64 v[10:11], v[10:11], v[13:14], v[10:11]
	v_mul_f64 v[13:14], v[15:16], v[10:11]
	v_fma_f64 v[6:7], -v[6:7], v[13:14], v[15:16]
	v_div_fmas_f64 v[6:7], v[6:7], v[10:11], v[13:14]
	v_div_fixup_f64 v[2:3], v[6:7], v[4:5], v[2:3]
	v_fma_f64 v[2:3], v[2:3], v[2:3], 1.0
	v_cmp_gt_f64_e32 vcc_lo, 0x10000000, v[2:3]
	v_cndmask_b32_e64 v6, 0, 0x100, vcc_lo
	v_ldexp_f64 v[2:3], v[2:3], v6
	v_rsq_f64_e32 v[6:7], v[2:3]
	v_mul_f64 v[10:11], v[2:3], v[6:7]
	v_mul_f64 v[6:7], v[6:7], 0.5
	v_fma_f64 v[13:14], -v[6:7], v[10:11], 0.5
	v_fma_f64 v[10:11], v[10:11], v[13:14], v[10:11]
	v_fma_f64 v[6:7], v[6:7], v[13:14], v[6:7]
	v_fma_f64 v[13:14], -v[10:11], v[10:11], v[2:3]
	v_fma_f64 v[10:11], v[13:14], v[6:7], v[10:11]
	v_fma_f64 v[13:14], -v[10:11], v[10:11], v[2:3]
	v_fma_f64 v[6:7], v[13:14], v[6:7], v[10:11]
	v_cndmask_b32_e64 v10, 0, 0xffffff80, vcc_lo
	v_cmp_class_f64_e64 vcc_lo, v[2:3], 0x260
	v_ldexp_f64 v[6:7], v[6:7], v10
	v_cndmask_b32_e32 v3, v7, v3, vcc_lo
	v_cndmask_b32_e32 v2, v6, v2, vcc_lo
	v_mul_f64 v[10:11], v[4:5], v[2:3]
.LBB46_42:
	s_or_b32 exec_lo, exec_lo, s2
                                        ; implicit-def: $vgpr2_vgpr3
                                        ; implicit-def: $vgpr4_vgpr5
.LBB46_43:
	s_andn2_saveexec_b32 s1, s1
	s_cbranch_execz .LBB46_45
; %bb.44:
	v_div_scale_f64 v[6:7], null, v[2:3], v[2:3], v[4:5]
	v_div_scale_f64 v[15:16], vcc_lo, v[4:5], v[2:3], v[4:5]
	v_rcp_f64_e32 v[10:11], v[6:7]
	v_fma_f64 v[13:14], -v[6:7], v[10:11], 1.0
	v_fma_f64 v[10:11], v[10:11], v[13:14], v[10:11]
	v_fma_f64 v[13:14], -v[6:7], v[10:11], 1.0
	v_fma_f64 v[10:11], v[10:11], v[13:14], v[10:11]
	v_mul_f64 v[13:14], v[15:16], v[10:11]
	v_fma_f64 v[6:7], -v[6:7], v[13:14], v[15:16]
	v_div_fmas_f64 v[6:7], v[6:7], v[10:11], v[13:14]
	v_div_fixup_f64 v[4:5], v[6:7], v[2:3], v[4:5]
	v_fma_f64 v[4:5], v[4:5], v[4:5], 1.0
	v_cmp_gt_f64_e32 vcc_lo, 0x10000000, v[4:5]
	v_cndmask_b32_e64 v6, 0, 0x100, vcc_lo
	v_ldexp_f64 v[4:5], v[4:5], v6
	v_rsq_f64_e32 v[6:7], v[4:5]
	v_mul_f64 v[10:11], v[4:5], v[6:7]
	v_mul_f64 v[6:7], v[6:7], 0.5
	v_fma_f64 v[13:14], -v[6:7], v[10:11], 0.5
	v_fma_f64 v[10:11], v[10:11], v[13:14], v[10:11]
	v_fma_f64 v[6:7], v[6:7], v[13:14], v[6:7]
	v_fma_f64 v[13:14], -v[10:11], v[10:11], v[4:5]
	v_fma_f64 v[10:11], v[13:14], v[6:7], v[10:11]
	v_fma_f64 v[13:14], -v[10:11], v[10:11], v[4:5]
	v_fma_f64 v[6:7], v[13:14], v[6:7], v[10:11]
	v_cndmask_b32_e64 v10, 0, 0xffffff80, vcc_lo
	v_cmp_class_f64_e64 vcc_lo, v[4:5], 0x260
	v_ldexp_f64 v[6:7], v[6:7], v10
	v_cndmask_b32_e32 v5, v7, v5, vcc_lo
	v_cndmask_b32_e32 v4, v6, v4, vcc_lo
	v_mul_f64 v[10:11], v[2:3], v[4:5]
.LBB46_45:
	s_or_b32 exec_lo, exec_lo, s1
	v_cmp_gt_f64_e32 vcc_lo, 0x10000000, v[10:11]
	v_cmp_eq_f64_e64 s1, 0, v[10:11]
	v_cndmask_b32_e64 v2, 0, 0x100, vcc_lo
	v_ldexp_f64 v[2:3], v[10:11], v2
	v_rsq_f64_e32 v[4:5], v[2:3]
	v_mul_f64 v[6:7], v[2:3], v[4:5]
	v_mul_f64 v[4:5], v[4:5], 0.5
	v_fma_f64 v[13:14], -v[4:5], v[6:7], 0.5
	v_fma_f64 v[6:7], v[6:7], v[13:14], v[6:7]
	v_fma_f64 v[4:5], v[4:5], v[13:14], v[4:5]
	v_fma_f64 v[13:14], -v[6:7], v[6:7], v[2:3]
	v_fma_f64 v[6:7], v[13:14], v[4:5], v[6:7]
	v_fma_f64 v[13:14], -v[6:7], v[6:7], v[2:3]
	v_fma_f64 v[4:5], v[13:14], v[4:5], v[6:7]
	v_cndmask_b32_e64 v6, 0, 0xffffff80, vcc_lo
	v_cmp_class_f64_e64 vcc_lo, v[2:3], 0x260
	v_ldexp_f64 v[5:6], v[4:5], v6
	v_mov_b32_e32 v4, 0
	v_cndmask_b32_e32 v3, v6, v3, vcc_lo
	v_cndmask_b32_e32 v2, v5, v2, vcc_lo
	v_mov_b32_e32 v5, v4
	global_store_dwordx4 v[0:1], v[2:5], off
	s_and_b32 exec_lo, exec_lo, s1
	s_cbranch_execz .LBB46_50
; %bb.46:
	s_mov_b32 s2, exec_lo
	s_brev_b32 s1, -2
.LBB46_47:                              ; =>This Inner Loop Header: Depth=1
	s_ff1_i32_b32 s4, s2
	v_readlane_b32 s5, v12, s4
	s_lshl_b32 s4, 1, s4
	s_andn2_b32 s2, s2, s4
	s_min_i32 s1, s1, s5
	s_cmp_lg_u32 s2, 0
	s_cbranch_scc1 .LBB46_47
; %bb.48:
	v_mbcnt_lo_u32_b32 v0, exec_lo, 0
	s_mov_b32 s2, exec_lo
	v_cmpx_eq_u32_e32 0, v0
	s_xor_b32 s2, exec_lo, s2
	s_cbranch_execz .LBB46_50
; %bb.49:
	v_mov_b32_e32 v0, 0
	v_mov_b32_e32 v1, s1
	global_atomic_smin v0, v1, s[12:13]
.LBB46_50:
	s_or_b32 exec_lo, exec_lo, s3
	s_and_b32 exec_lo, exec_lo, s0
	s_cbranch_execz .LBB46_52
; %bb.51:
	v_add_co_u32 v0, vcc_lo, s8, v8
	v_add_co_ci_u32_e64 v1, null, s9, v9, vcc_lo
	v_mov_b32_e32 v2, 1
	s_waitcnt lgkmcnt(0)
	s_waitcnt_vscnt null, 0x0
	global_store_dword v[0:1], v2, off
.LBB46_52:
	s_endpgm
	.section	.rodata,"a",@progbits
	.p2align	6, 0x0
	.amdhsa_kernel _ZN9rocsparseL18csric0_hash_kernelILj256ELj64ELj1E21rocsparse_complex_numIdEEEviPKiS4_PT2_S4_PiS4_S7_S7_d21rocsparse_index_base_
		.amdhsa_group_segment_fixed_size 2048
		.amdhsa_private_segment_fixed_size 0
		.amdhsa_kernarg_size 84
		.amdhsa_user_sgpr_count 6
		.amdhsa_user_sgpr_private_segment_buffer 1
		.amdhsa_user_sgpr_dispatch_ptr 0
		.amdhsa_user_sgpr_queue_ptr 0
		.amdhsa_user_sgpr_kernarg_segment_ptr 1
		.amdhsa_user_sgpr_dispatch_id 0
		.amdhsa_user_sgpr_flat_scratch_init 0
		.amdhsa_user_sgpr_private_segment_size 0
		.amdhsa_wavefront_size32 1
		.amdhsa_uses_dynamic_stack 0
		.amdhsa_system_sgpr_private_segment_wavefront_offset 0
		.amdhsa_system_sgpr_workgroup_id_x 1
		.amdhsa_system_sgpr_workgroup_id_y 0
		.amdhsa_system_sgpr_workgroup_id_z 0
		.amdhsa_system_sgpr_workgroup_info 0
		.amdhsa_system_vgpr_workitem_id 0
		.amdhsa_next_free_vgpr 44
		.amdhsa_next_free_sgpr 30
		.amdhsa_reserve_vcc 1
		.amdhsa_reserve_flat_scratch 0
		.amdhsa_float_round_mode_32 0
		.amdhsa_float_round_mode_16_64 0
		.amdhsa_float_denorm_mode_32 3
		.amdhsa_float_denorm_mode_16_64 3
		.amdhsa_dx10_clamp 1
		.amdhsa_ieee_mode 1
		.amdhsa_fp16_overflow 0
		.amdhsa_workgroup_processor_mode 1
		.amdhsa_memory_ordered 1
		.amdhsa_forward_progress 1
		.amdhsa_shared_vgpr_count 0
		.amdhsa_exception_fp_ieee_invalid_op 0
		.amdhsa_exception_fp_denorm_src 0
		.amdhsa_exception_fp_ieee_div_zero 0
		.amdhsa_exception_fp_ieee_overflow 0
		.amdhsa_exception_fp_ieee_underflow 0
		.amdhsa_exception_fp_ieee_inexact 0
		.amdhsa_exception_int_div_zero 0
	.end_amdhsa_kernel
	.section	.text._ZN9rocsparseL18csric0_hash_kernelILj256ELj64ELj1E21rocsparse_complex_numIdEEEviPKiS4_PT2_S4_PiS4_S7_S7_d21rocsparse_index_base_,"axG",@progbits,_ZN9rocsparseL18csric0_hash_kernelILj256ELj64ELj1E21rocsparse_complex_numIdEEEviPKiS4_PT2_S4_PiS4_S7_S7_d21rocsparse_index_base_,comdat
.Lfunc_end46:
	.size	_ZN9rocsparseL18csric0_hash_kernelILj256ELj64ELj1E21rocsparse_complex_numIdEEEviPKiS4_PT2_S4_PiS4_S7_S7_d21rocsparse_index_base_, .Lfunc_end46-_ZN9rocsparseL18csric0_hash_kernelILj256ELj64ELj1E21rocsparse_complex_numIdEEEviPKiS4_PT2_S4_PiS4_S7_S7_d21rocsparse_index_base_
                                        ; -- End function
	.set _ZN9rocsparseL18csric0_hash_kernelILj256ELj64ELj1E21rocsparse_complex_numIdEEEviPKiS4_PT2_S4_PiS4_S7_S7_d21rocsparse_index_base_.num_vgpr, 44
	.set _ZN9rocsparseL18csric0_hash_kernelILj256ELj64ELj1E21rocsparse_complex_numIdEEEviPKiS4_PT2_S4_PiS4_S7_S7_d21rocsparse_index_base_.num_agpr, 0
	.set _ZN9rocsparseL18csric0_hash_kernelILj256ELj64ELj1E21rocsparse_complex_numIdEEEviPKiS4_PT2_S4_PiS4_S7_S7_d21rocsparse_index_base_.numbered_sgpr, 30
	.set _ZN9rocsparseL18csric0_hash_kernelILj256ELj64ELj1E21rocsparse_complex_numIdEEEviPKiS4_PT2_S4_PiS4_S7_S7_d21rocsparse_index_base_.num_named_barrier, 0
	.set _ZN9rocsparseL18csric0_hash_kernelILj256ELj64ELj1E21rocsparse_complex_numIdEEEviPKiS4_PT2_S4_PiS4_S7_S7_d21rocsparse_index_base_.private_seg_size, 0
	.set _ZN9rocsparseL18csric0_hash_kernelILj256ELj64ELj1E21rocsparse_complex_numIdEEEviPKiS4_PT2_S4_PiS4_S7_S7_d21rocsparse_index_base_.uses_vcc, 1
	.set _ZN9rocsparseL18csric0_hash_kernelILj256ELj64ELj1E21rocsparse_complex_numIdEEEviPKiS4_PT2_S4_PiS4_S7_S7_d21rocsparse_index_base_.uses_flat_scratch, 0
	.set _ZN9rocsparseL18csric0_hash_kernelILj256ELj64ELj1E21rocsparse_complex_numIdEEEviPKiS4_PT2_S4_PiS4_S7_S7_d21rocsparse_index_base_.has_dyn_sized_stack, 0
	.set _ZN9rocsparseL18csric0_hash_kernelILj256ELj64ELj1E21rocsparse_complex_numIdEEEviPKiS4_PT2_S4_PiS4_S7_S7_d21rocsparse_index_base_.has_recursion, 0
	.set _ZN9rocsparseL18csric0_hash_kernelILj256ELj64ELj1E21rocsparse_complex_numIdEEEviPKiS4_PT2_S4_PiS4_S7_S7_d21rocsparse_index_base_.has_indirect_call, 0
	.section	.AMDGPU.csdata,"",@progbits
; Kernel info:
; codeLenInByte = 3192
; TotalNumSgprs: 32
; NumVgprs: 44
; ScratchSize: 0
; MemoryBound: 0
; FloatMode: 240
; IeeeMode: 1
; LDSByteSize: 2048 bytes/workgroup (compile time only)
; SGPRBlocks: 0
; VGPRBlocks: 5
; NumSGPRsForWavesPerEU: 32
; NumVGPRsForWavesPerEU: 44
; Occupancy: 16
; WaveLimiterHint : 1
; COMPUTE_PGM_RSRC2:SCRATCH_EN: 0
; COMPUTE_PGM_RSRC2:USER_SGPR: 6
; COMPUTE_PGM_RSRC2:TRAP_HANDLER: 0
; COMPUTE_PGM_RSRC2:TGID_X_EN: 1
; COMPUTE_PGM_RSRC2:TGID_Y_EN: 0
; COMPUTE_PGM_RSRC2:TGID_Z_EN: 0
; COMPUTE_PGM_RSRC2:TIDIG_COMP_CNT: 0
	.section	.text._ZN9rocsparseL18csric0_hash_kernelILj256ELj64ELj2E21rocsparse_complex_numIdEEEviPKiS4_PT2_S4_PiS4_S7_S7_d21rocsparse_index_base_,"axG",@progbits,_ZN9rocsparseL18csric0_hash_kernelILj256ELj64ELj2E21rocsparse_complex_numIdEEEviPKiS4_PT2_S4_PiS4_S7_S7_d21rocsparse_index_base_,comdat
	.globl	_ZN9rocsparseL18csric0_hash_kernelILj256ELj64ELj2E21rocsparse_complex_numIdEEEviPKiS4_PT2_S4_PiS4_S7_S7_d21rocsparse_index_base_ ; -- Begin function _ZN9rocsparseL18csric0_hash_kernelILj256ELj64ELj2E21rocsparse_complex_numIdEEEviPKiS4_PT2_S4_PiS4_S7_S7_d21rocsparse_index_base_
	.p2align	8
	.type	_ZN9rocsparseL18csric0_hash_kernelILj256ELj64ELj2E21rocsparse_complex_numIdEEEviPKiS4_PT2_S4_PiS4_S7_S7_d21rocsparse_index_base_,@function
_ZN9rocsparseL18csric0_hash_kernelILj256ELj64ELj2E21rocsparse_complex_numIdEEEviPKiS4_PT2_S4_PiS4_S7_S7_d21rocsparse_index_base_: ; @_ZN9rocsparseL18csric0_hash_kernelILj256ELj64ELj2E21rocsparse_complex_numIdEEEviPKiS4_PT2_S4_PiS4_S7_S7_d21rocsparse_index_base_
; %bb.0:
	s_clause 0x1
	s_load_dwordx8 s[16:23], s[4:5], 0x8
	s_load_dwordx8 s[8:15], s[4:5], 0x28
	v_lshrrev_b32_e32 v1, 6, v0
	v_and_b32_e32 v28, 63, v0
	s_mov_b32 s0, 0
	v_lshlrev_b32_e32 v3, 9, v1
	v_lshlrev_b32_e32 v4, 2, v28
	v_or_b32_e32 v2, 0xffffffc0, v28
	v_or3_b32 v3, v3, v4, 0x800
	v_mov_b32_e32 v4, -1
.LBB47_1:                               ; =>This Inner Loop Header: Depth=1
	v_add_co_u32 v2, s1, v2, 64
	s_xor_b32 s1, s1, -1
	ds_write_b32 v3, v4
	v_add_nc_u32_e32 v3, 0x100, v3
	s_and_b32 s1, exec_lo, s1
	s_or_b32 s0, s1, s0
	s_andn2_b32 exec_lo, exec_lo, s0
	s_cbranch_execnz .LBB47_1
; %bb.2:
	s_or_b32 exec_lo, exec_lo, s0
	s_load_dword s0, s[4:5], 0x0
	s_lshl_b32 s1, s6, 2
	s_waitcnt lgkmcnt(0)
	buffer_gl0_inv
	v_and_or_b32 v1, 0x3fffffc, s1, v1
	v_cmp_gt_i32_e32 vcc_lo, s0, v1
	s_and_saveexec_b32 s0, vcc_lo
	s_cbranch_execz .LBB47_54
; %bb.3:
	v_lshlrev_b32_e32 v1, 2, v1
	s_load_dword s2, s[4:5], 0x50
	v_lshlrev_b32_e32 v0, 3, v0
	s_mov_b32 s0, exec_lo
	global_load_dword v10, v1, s[10:11]
	v_and_b32_e32 v29, 0x600, v0
	v_or_b32_e32 v30, 0x800, v29
	s_waitcnt vmcnt(0)
	v_ashrrev_i32_e32 v11, 31, v10
	v_lshlrev_b64 v[8:9], 2, v[10:11]
	v_add_co_u32 v1, vcc_lo, s16, v8
	v_add_co_ci_u32_e64 v2, null, s17, v9, vcc_lo
	v_add_co_u32 v3, vcc_lo, s22, v8
	v_add_co_ci_u32_e64 v4, null, s23, v9, vcc_lo
	global_load_dwordx2 v[1:2], v[1:2], off
	global_load_dword v11, v[3:4], off
	s_waitcnt vmcnt(1) lgkmcnt(0)
	v_subrev_nc_u32_e32 v12, s2, v1
	v_subrev_nc_u32_e32 v2, s2, v2
	v_add_nc_u32_e32 v0, v12, v28
	v_cmpx_lt_i32_e64 v0, v2
	s_cbranch_execz .LBB47_13
; %bb.4:
	v_mov_b32_e32 v3, -1
	s_mov_b32 s1, 0
	s_branch .LBB47_6
.LBB47_5:                               ;   in Loop: Header=BB47_6 Depth=1
	s_or_b32 exec_lo, exec_lo, s3
	v_add_nc_u32_e32 v0, 64, v0
	v_cmp_ge_i32_e32 vcc_lo, v0, v2
	s_or_b32 s1, vcc_lo, s1
	s_andn2_b32 exec_lo, exec_lo, s1
	s_cbranch_execz .LBB47_13
.LBB47_6:                               ; =>This Loop Header: Depth=1
                                        ;     Child Loop BB47_9 Depth 2
	v_ashrrev_i32_e32 v1, 31, v0
	s_mov_b32 s3, exec_lo
	v_lshlrev_b64 v[4:5], 2, v[0:1]
	v_add_co_u32 v4, vcc_lo, s18, v4
	v_add_co_ci_u32_e64 v5, null, s19, v5, vcc_lo
	global_load_dword v1, v[4:5], off
	s_waitcnt vmcnt(0)
	v_mul_lo_u32 v4, 0x67, v1
	v_and_b32_e32 v4, 0x7f, v4
	v_lshl_add_u32 v5, v4, 2, v30
	ds_read_b32 v6, v5
	s_waitcnt lgkmcnt(0)
	v_cmpx_ne_u32_e64 v6, v1
	s_cbranch_execz .LBB47_5
; %bb.7:                                ;   in Loop: Header=BB47_6 Depth=1
	s_mov_b32 s6, 0
                                        ; implicit-def: $sgpr7
                                        ; implicit-def: $sgpr11
                                        ; implicit-def: $sgpr10
	s_inst_prefetch 0x1
	s_branch .LBB47_9
	.p2align	6
.LBB47_8:                               ;   in Loop: Header=BB47_9 Depth=2
	s_or_b32 exec_lo, exec_lo, s24
	s_and_b32 s24, exec_lo, s11
	s_or_b32 s6, s24, s6
	s_andn2_b32 s7, s7, exec_lo
	s_and_b32 s24, s10, exec_lo
	s_or_b32 s7, s7, s24
	s_andn2_b32 exec_lo, exec_lo, s6
	s_cbranch_execz .LBB47_11
.LBB47_9:                               ;   Parent Loop BB47_6 Depth=1
                                        ; =>  This Inner Loop Header: Depth=2
	ds_cmpst_rtn_b32 v5, v5, v3, v1
	v_mov_b32_e32 v6, v4
	s_or_b32 s10, s10, exec_lo
	s_or_b32 s11, s11, exec_lo
                                        ; implicit-def: $vgpr4
	s_waitcnt lgkmcnt(0)
	v_cmp_ne_u32_e32 vcc_lo, -1, v5
                                        ; implicit-def: $vgpr5
	s_and_saveexec_b32 s24, vcc_lo
	s_cbranch_execz .LBB47_8
; %bb.10:                               ;   in Loop: Header=BB47_9 Depth=2
	v_add_nc_u32_e32 v4, 1, v6
	s_andn2_b32 s11, s11, exec_lo
	s_andn2_b32 s10, s10, exec_lo
	v_and_b32_e32 v4, 0x7f, v4
	v_lshl_add_u32 v5, v4, 2, v30
	ds_read_b32 v7, v5
	s_waitcnt lgkmcnt(0)
	v_cmp_eq_u32_e32 vcc_lo, v7, v1
	s_and_b32 s25, vcc_lo, exec_lo
	s_or_b32 s11, s11, s25
	s_branch .LBB47_8
.LBB47_11:                              ;   in Loop: Header=BB47_6 Depth=1
	s_inst_prefetch 0x2
	s_or_b32 exec_lo, exec_lo, s6
	s_and_saveexec_b32 s6, s7
	s_xor_b32 s6, exec_lo, s6
	s_cbranch_execz .LBB47_5
; %bb.12:                               ;   in Loop: Header=BB47_6 Depth=1
	v_lshl_add_u32 v1, v6, 2, v29
	ds_write_b32 v1, v0
	s_branch .LBB47_5
.LBB47_13:
	s_or_b32 exec_lo, exec_lo, s0
	v_mov_b32_e32 v14, 0
	v_mov_b32_e32 v16, 0
	;; [unrolled: 1-line block ×4, first 2 shown]
	s_mov_b32 s3, exec_lo
	s_waitcnt vmcnt(0) lgkmcnt(0)
	buffer_gl0_inv
	v_cmpx_lt_i32_e64 v12, v11
	s_cbranch_execz .LBB47_35
; %bb.14:
	v_mbcnt_lo_u32_b32 v31, -1, 0
	v_mov_b32_e32 v14, 0
	v_mov_b32_e32 v16, 0
	v_add_nc_u32_e32 v32, -1, v11
	v_subrev_nc_u32_e32 v33, s2, v28
	v_cmp_eq_u32_e64 s0, 63, v28
	v_mov_b32_e32 v15, 0
	v_or_b32_e32 v34, 32, v31
	v_xor_b32_e32 v35, 16, v31
	v_xor_b32_e32 v36, 8, v31
	;; [unrolled: 1-line block ×4, first 2 shown]
	v_mov_b32_e32 v17, 0
	v_xor_b32_e32 v39, 1, v31
	s_mov_b32 s6, 0
	s_branch .LBB47_17
.LBB47_15:                              ;   in Loop: Header=BB47_17 Depth=1
	s_or_b32 exec_lo, exec_lo, s7
	v_add_nc_u32_e32 v12, 1, v12
	v_cmp_ge_i32_e32 vcc_lo, v12, v11
	s_orn2_b32 s7, vcc_lo, exec_lo
.LBB47_16:                              ;   in Loop: Header=BB47_17 Depth=1
	s_or_b32 exec_lo, exec_lo, s1
	s_and_b32 s1, exec_lo, s7
	s_or_b32 s6, s1, s6
	s_andn2_b32 exec_lo, exec_lo, s6
	s_cbranch_execz .LBB47_34
.LBB47_17:                              ; =>This Loop Header: Depth=1
                                        ;     Child Loop BB47_18 Depth 2
                                        ;     Child Loop BB47_24 Depth 2
                                        ;       Child Loop BB47_27 Depth 3
	v_ashrrev_i32_e32 v13, 31, v12
	s_mov_b32 s1, 0
	v_lshlrev_b64 v[0:1], 2, v[12:13]
	v_lshlrev_b64 v[2:3], 4, v[12:13]
	v_add_co_u32 v0, vcc_lo, s18, v0
	v_add_co_ci_u32_e64 v1, null, s19, v1, vcc_lo
	v_add_co_u32 v18, vcc_lo, s20, v2
	v_add_co_ci_u32_e64 v19, null, s21, v3, vcc_lo
	global_load_dword v0, v[0:1], off
	s_waitcnt vmcnt(0)
	v_subrev_nc_u32_e32 v0, s2, v0
	v_ashrrev_i32_e32 v1, 31, v0
	v_lshlrev_b64 v[4:5], 2, v[0:1]
	v_add_co_u32 v6, vcc_lo, s16, v4
	v_add_co_ci_u32_e64 v7, null, s17, v5, vcc_lo
	v_add_co_u32 v20, vcc_lo, s22, v4
	v_add_co_ci_u32_e64 v21, null, s23, v5, vcc_lo
	global_load_dwordx4 v[0:3], v[18:19], off
	global_load_dword v13, v[6:7], off
	global_load_dword v6, v[20:21], off
	v_add_co_u32 v4, vcc_lo, s8, v4
	v_add_co_ci_u32_e64 v5, null, s9, v5, vcc_lo
.LBB47_18:                              ;   Parent Loop BB47_17 Depth=1
                                        ; =>  This Inner Loop Header: Depth=2
	global_load_dword v7, v[4:5], off glc dlc
	s_waitcnt vmcnt(0)
	v_cmp_ne_u32_e32 vcc_lo, 0, v7
	s_or_b32 s1, vcc_lo, s1
	s_andn2_b32 exec_lo, exec_lo, s1
	s_cbranch_execnz .LBB47_18
; %bb.19:                               ;   in Loop: Header=BB47_17 Depth=1
	s_or_b32 exec_lo, exec_lo, s1
	v_cmp_eq_u32_e32 vcc_lo, -1, v6
	buffer_gl1_inv
	buffer_gl0_inv
	s_mov_b32 s7, -1
	s_waitcnt lgkmcnt(3)
	v_cndmask_b32_e32 v24, v6, v32, vcc_lo
	s_waitcnt lgkmcnt(2)
	v_ashrrev_i32_e32 v25, 31, v24
	v_lshlrev_b64 v[4:5], 4, v[24:25]
	v_add_co_u32 v4, vcc_lo, s20, v4
	v_add_co_ci_u32_e64 v5, null, s21, v5, vcc_lo
	global_load_dwordx4 v[4:7], v[4:5], off
	s_waitcnt vmcnt(0)
	v_cmp_neq_f64_e32 vcc_lo, 0, v[4:5]
	v_cmp_neq_f64_e64 s1, 0, v[6:7]
	s_or_b32 s10, vcc_lo, s1
	s_and_saveexec_b32 s1, s10
	s_cbranch_execz .LBB47_16
; %bb.20:                               ;   in Loop: Header=BB47_17 Depth=1
	v_mov_b32_e32 v20, 0
	v_mov_b32_e32 v22, 0
	v_add_nc_u32_e32 v25, v33, v13
	v_mov_b32_e32 v21, 0
	v_mov_b32_e32 v23, 0
	s_mov_b32 s7, exec_lo
	v_cmpx_lt_i32_e64 v25, v24
	s_cbranch_execz .LBB47_32
; %bb.21:                               ;   in Loop: Header=BB47_17 Depth=1
	v_mov_b32_e32 v20, 0
	v_mov_b32_e32 v22, 0
	;; [unrolled: 1-line block ×4, first 2 shown]
	s_mov_b32 s10, 0
	s_branch .LBB47_24
.LBB47_22:                              ;   in Loop: Header=BB47_24 Depth=2
	s_or_b32 exec_lo, exec_lo, s24
.LBB47_23:                              ;   in Loop: Header=BB47_24 Depth=2
	s_or_b32 exec_lo, exec_lo, s11
	v_add_nc_u32_e32 v25, 64, v25
	v_cmp_ge_i32_e32 vcc_lo, v25, v24
	s_or_b32 s10, vcc_lo, s10
	s_andn2_b32 exec_lo, exec_lo, s10
	s_cbranch_execz .LBB47_31
.LBB47_24:                              ;   Parent Loop BB47_17 Depth=1
                                        ; =>  This Loop Header: Depth=2
                                        ;       Child Loop BB47_27 Depth 3
	s_waitcnt lgkmcnt(1)
	v_ashrrev_i32_e32 v26, 31, v25
	s_mov_b32 s11, exec_lo
	v_lshlrev_b64 v[40:41], 2, v[25:26]
	v_add_co_u32 v40, vcc_lo, s18, v40
	v_add_co_ci_u32_e64 v41, null, s19, v41, vcc_lo
	global_load_dword v13, v[40:41], off
	s_waitcnt vmcnt(0) lgkmcnt(0)
	v_mul_lo_u32 v27, 0x67, v13
	v_and_b32_e32 v41, 0x7f, v27
	v_lshl_add_u32 v27, v41, 2, v30
	ds_read_b32 v40, v27
	s_waitcnt lgkmcnt(0)
	v_cmpx_ne_u32_e32 -1, v40
	s_cbranch_execz .LBB47_23
; %bb.25:                               ;   in Loop: Header=BB47_24 Depth=2
	s_mov_b32 s25, 0
                                        ; implicit-def: $sgpr24
                                        ; implicit-def: $sgpr27
                                        ; implicit-def: $sgpr26
	s_inst_prefetch 0x1
	s_branch .LBB47_27
	.p2align	6
.LBB47_26:                              ;   in Loop: Header=BB47_27 Depth=3
	s_or_b32 exec_lo, exec_lo, s28
	s_and_b32 s28, exec_lo, s27
	s_or_b32 s25, s28, s25
	s_andn2_b32 s24, s24, exec_lo
	s_and_b32 s28, s26, exec_lo
	s_or_b32 s24, s24, s28
	s_andn2_b32 exec_lo, exec_lo, s25
	s_cbranch_execz .LBB47_29
.LBB47_27:                              ;   Parent Loop BB47_17 Depth=1
                                        ;     Parent Loop BB47_24 Depth=2
                                        ; =>    This Inner Loop Header: Depth=3
	v_mov_b32_e32 v27, v41
	v_cmp_ne_u32_e32 vcc_lo, v40, v13
	s_or_b32 s26, s26, exec_lo
	s_or_b32 s27, s27, exec_lo
                                        ; implicit-def: $vgpr41
                                        ; implicit-def: $vgpr40
	s_and_saveexec_b32 s28, vcc_lo
	s_cbranch_execz .LBB47_26
; %bb.28:                               ;   in Loop: Header=BB47_27 Depth=3
	v_add_nc_u32_e32 v40, 1, v27
	s_andn2_b32 s27, s27, exec_lo
	s_andn2_b32 s26, s26, exec_lo
	v_and_b32_e32 v41, 0x7f, v40
	v_lshl_add_u32 v40, v41, 2, v30
	ds_read_b32 v40, v40
	s_waitcnt lgkmcnt(0)
	v_cmp_eq_u32_e32 vcc_lo, -1, v40
	s_and_b32 s29, vcc_lo, exec_lo
	s_or_b32 s27, s27, s29
	s_branch .LBB47_26
.LBB47_29:                              ;   in Loop: Header=BB47_24 Depth=2
	s_inst_prefetch 0x2
	s_or_b32 exec_lo, exec_lo, s25
	s_and_saveexec_b32 s25, s24
	s_xor_b32 s24, exec_lo, s25
	s_cbranch_execz .LBB47_22
; %bb.30:                               ;   in Loop: Header=BB47_24 Depth=2
	v_lshl_add_u32 v13, v27, 2, v29
	v_lshlrev_b64 v[26:27], 4, v[25:26]
	ds_read_b32 v40, v13
	v_add_co_u32 v26, vcc_lo, s20, v26
	v_add_co_ci_u32_e64 v27, null, s21, v27, vcc_lo
	s_waitcnt lgkmcnt(0)
	v_ashrrev_i32_e32 v41, 31, v40
	v_lshlrev_b64 v[40:41], 4, v[40:41]
	v_add_co_u32 v44, vcc_lo, s20, v40
	v_add_co_ci_u32_e64 v45, null, s21, v41, vcc_lo
	s_clause 0x1
	global_load_dwordx4 v[40:43], v[26:27], off
	global_load_dwordx4 v[44:47], v[44:45], off
	s_waitcnt vmcnt(0)
	v_fma_f64 v[22:23], v[40:41], v[44:45], v[22:23]
	v_fma_f64 v[20:21], v[42:43], v[44:45], v[20:21]
	;; [unrolled: 1-line block ×3, first 2 shown]
	v_fma_f64 v[20:21], v[40:41], -v[46:47], v[20:21]
	s_branch .LBB47_22
.LBB47_31:                              ;   in Loop: Header=BB47_17 Depth=1
	s_or_b32 exec_lo, exec_lo, s10
.LBB47_32:                              ;   in Loop: Header=BB47_17 Depth=1
	s_or_b32 exec_lo, exec_lo, s7
	v_cmp_gt_i32_e32 vcc_lo, 32, v34
	v_cndmask_b32_e32 v13, v31, v34, vcc_lo
	v_cmp_gt_i32_e32 vcc_lo, 32, v35
	v_lshlrev_b32_e32 v13, 2, v13
	ds_bpermute_b32 v24, v13, v22
	ds_bpermute_b32 v25, v13, v23
	s_waitcnt lgkmcnt(3)
	ds_bpermute_b32 v26, v13, v20
	s_waitcnt lgkmcnt(3)
	ds_bpermute_b32 v27, v13, v21
	v_cndmask_b32_e32 v13, v31, v35, vcc_lo
	v_cmp_gt_i32_e32 vcc_lo, 32, v36
	v_lshlrev_b32_e32 v13, 2, v13
	s_waitcnt lgkmcnt(2)
	v_add_f64 v[22:23], v[22:23], v[24:25]
	s_waitcnt lgkmcnt(0)
	v_add_f64 v[20:21], v[20:21], v[26:27]
	ds_bpermute_b32 v24, v13, v22
	ds_bpermute_b32 v25, v13, v23
	ds_bpermute_b32 v26, v13, v20
	ds_bpermute_b32 v27, v13, v21
	v_cndmask_b32_e32 v13, v31, v36, vcc_lo
	v_cmp_gt_i32_e32 vcc_lo, 32, v37
	v_lshlrev_b32_e32 v13, 2, v13
	s_waitcnt lgkmcnt(2)
	v_add_f64 v[22:23], v[22:23], v[24:25]
	s_waitcnt lgkmcnt(0)
	v_add_f64 v[20:21], v[20:21], v[26:27]
	ds_bpermute_b32 v24, v13, v22
	ds_bpermute_b32 v25, v13, v23
	ds_bpermute_b32 v26, v13, v20
	;; [unrolled: 11-line block ×4, first 2 shown]
	ds_bpermute_b32 v27, v13, v25
	v_cndmask_b32_e32 v13, v31, v39, vcc_lo
	v_lshlrev_b32_e32 v13, 2, v13
	s_waitcnt lgkmcnt(2)
	v_add_f64 v[20:21], v[22:23], v[20:21]
	s_waitcnt lgkmcnt(0)
	v_add_f64 v[22:23], v[24:25], v[26:27]
	ds_bpermute_b32 v24, v13, v20
	ds_bpermute_b32 v25, v13, v21
	ds_bpermute_b32 v26, v13, v22
	ds_bpermute_b32 v27, v13, v23
	s_and_saveexec_b32 s7, s0
	s_cbranch_execz .LBB47_15
; %bb.33:                               ;   in Loop: Header=BB47_17 Depth=1
	v_mul_f64 v[40:41], v[6:7], v[6:7]
	s_waitcnt lgkmcnt(0)
	v_add_f64 v[22:23], v[22:23], v[26:27]
	v_add_f64 v[20:21], v[20:21], v[24:25]
	v_fma_f64 v[40:41], v[4:5], v[4:5], v[40:41]
	v_add_f64 v[2:3], v[2:3], -v[22:23]
	v_add_f64 v[0:1], v[0:1], -v[20:21]
	v_div_scale_f64 v[42:43], null, v[40:41], v[40:41], 1.0
	v_div_scale_f64 v[48:49], vcc_lo, 1.0, v[40:41], 1.0
	v_rcp_f64_e32 v[44:45], v[42:43]
	v_fma_f64 v[46:47], -v[42:43], v[44:45], 1.0
	v_fma_f64 v[44:45], v[44:45], v[46:47], v[44:45]
	v_fma_f64 v[46:47], -v[42:43], v[44:45], 1.0
	v_fma_f64 v[44:45], v[44:45], v[46:47], v[44:45]
	v_mul_f64 v[46:47], v[48:49], v[44:45]
	v_fma_f64 v[42:43], -v[42:43], v[46:47], v[48:49]
	v_div_fmas_f64 v[42:43], v[42:43], v[44:45], v[46:47]
	v_fma_f64 v[44:45], v[4:5], 0, -v[6:7]
	v_fma_f64 v[4:5], v[6:7], 0, v[4:5]
	v_div_fixup_f64 v[26:27], v[42:43], v[40:41], 1.0
	v_mul_f64 v[6:7], v[44:45], v[26:27]
	v_mul_f64 v[4:5], v[4:5], v[26:27]
	v_mul_f64 v[20:21], v[6:7], -v[2:3]
	v_mul_f64 v[6:7], v[6:7], v[0:1]
	v_fma_f64 v[0:1], v[0:1], v[4:5], v[20:21]
	v_fma_f64 v[2:3], v[2:3], v[4:5], v[6:7]
	;; [unrolled: 1-line block ×4, first 2 shown]
	global_store_dwordx4 v[18:19], v[0:3], off
	v_fma_f64 v[16:17], v[2:3], v[2:3], v[4:5]
	v_fma_f64 v[14:15], v[0:1], -v[2:3], v[6:7]
	s_branch .LBB47_15
.LBB47_34:
	s_or_b32 exec_lo, exec_lo, s6
.LBB47_35:
	s_or_b32 exec_lo, exec_lo, s3
	v_cmp_eq_u32_e64 s0, 63, v28
	v_cmp_lt_i32_e32 vcc_lo, -1, v11
	s_and_b32 s1, s0, vcc_lo
	s_and_saveexec_b32 s3, s1
	s_cbranch_execz .LBB47_52
; %bb.36:
	v_mov_b32_e32 v12, 0
	s_load_dwordx2 s[4:5], s[4:5], 0x48
	v_lshlrev_b64 v[0:1], 4, v[11:12]
	v_add_co_u32 v0, vcc_lo, s20, v0
	v_add_co_ci_u32_e64 v1, null, s21, v1, vcc_lo
	global_load_dwordx4 v[2:5], v[0:1], off
	s_waitcnt lgkmcnt(0)
	v_mul_f64 v[11:12], s[4:5], s[4:5]
	s_waitcnt vmcnt(0)
	v_add_f64 v[2:3], v[2:3], -v[16:17]
	v_add_f64 v[6:7], v[4:5], -v[14:15]
	v_cmp_le_f64_e32 vcc_lo, v[2:3], v[11:12]
	v_cmp_eq_f64_e64 s1, 0, v[6:7]
	v_add_nc_u32_e32 v12, s2, v10
	s_and_b32 s2, vcc_lo, s1
	s_and_saveexec_b32 s1, s2
	s_cbranch_execz .LBB47_41
; %bb.37:
	s_mov_b32 s4, exec_lo
	s_brev_b32 s2, -2
.LBB47_38:                              ; =>This Inner Loop Header: Depth=1
	s_ff1_i32_b32 s5, s4
	v_readlane_b32 s6, v12, s5
	s_lshl_b32 s5, 1, s5
	s_andn2_b32 s4, s4, s5
	s_min_i32 s2, s2, s6
	s_cmp_lg_u32 s4, 0
	s_cbranch_scc1 .LBB47_38
; %bb.39:
	v_mbcnt_lo_u32_b32 v4, exec_lo, 0
	s_mov_b32 s4, exec_lo
	v_cmpx_eq_u32_e32 0, v4
	s_xor_b32 s4, exec_lo, s4
	s_cbranch_execz .LBB47_41
; %bb.40:
	v_mov_b32_e32 v4, 0
	v_mov_b32_e32 v5, s2
	global_atomic_smin v4, v5, s[14:15]
.LBB47_41:
	s_or_b32 exec_lo, exec_lo, s1
	v_cmp_gt_f64_e32 vcc_lo, 0, v[2:3]
	v_xor_b32_e32 v4, 0x80000000, v3
	v_xor_b32_e32 v5, 0x80000000, v7
	s_mov_b32 s1, exec_lo
                                        ; implicit-def: $vgpr10_vgpr11
	v_cndmask_b32_e32 v3, v3, v4, vcc_lo
	v_cmp_gt_f64_e32 vcc_lo, 0, v[6:7]
	v_mov_b32_e32 v4, v6
	v_cndmask_b32_e32 v5, v7, v5, vcc_lo
	v_cmpx_ngt_f64_e32 v[2:3], v[4:5]
	s_xor_b32 s1, exec_lo, s1
	s_cbranch_execz .LBB47_45
; %bb.42:
	v_mov_b32_e32 v10, 0
	v_mov_b32_e32 v11, 0
	s_mov_b32 s2, exec_lo
	v_cmpx_neq_f64_e32 0, v[6:7]
	s_cbranch_execz .LBB47_44
; %bb.43:
	v_div_scale_f64 v[6:7], null, v[4:5], v[4:5], v[2:3]
	v_div_scale_f64 v[15:16], vcc_lo, v[2:3], v[4:5], v[2:3]
	v_rcp_f64_e32 v[10:11], v[6:7]
	v_fma_f64 v[13:14], -v[6:7], v[10:11], 1.0
	v_fma_f64 v[10:11], v[10:11], v[13:14], v[10:11]
	v_fma_f64 v[13:14], -v[6:7], v[10:11], 1.0
	v_fma_f64 v[10:11], v[10:11], v[13:14], v[10:11]
	v_mul_f64 v[13:14], v[15:16], v[10:11]
	v_fma_f64 v[6:7], -v[6:7], v[13:14], v[15:16]
	v_div_fmas_f64 v[6:7], v[6:7], v[10:11], v[13:14]
	v_div_fixup_f64 v[2:3], v[6:7], v[4:5], v[2:3]
	v_fma_f64 v[2:3], v[2:3], v[2:3], 1.0
	v_cmp_gt_f64_e32 vcc_lo, 0x10000000, v[2:3]
	v_cndmask_b32_e64 v6, 0, 0x100, vcc_lo
	v_ldexp_f64 v[2:3], v[2:3], v6
	v_rsq_f64_e32 v[6:7], v[2:3]
	v_mul_f64 v[10:11], v[2:3], v[6:7]
	v_mul_f64 v[6:7], v[6:7], 0.5
	v_fma_f64 v[13:14], -v[6:7], v[10:11], 0.5
	v_fma_f64 v[10:11], v[10:11], v[13:14], v[10:11]
	v_fma_f64 v[6:7], v[6:7], v[13:14], v[6:7]
	v_fma_f64 v[13:14], -v[10:11], v[10:11], v[2:3]
	v_fma_f64 v[10:11], v[13:14], v[6:7], v[10:11]
	v_fma_f64 v[13:14], -v[10:11], v[10:11], v[2:3]
	v_fma_f64 v[6:7], v[13:14], v[6:7], v[10:11]
	v_cndmask_b32_e64 v10, 0, 0xffffff80, vcc_lo
	v_cmp_class_f64_e64 vcc_lo, v[2:3], 0x260
	v_ldexp_f64 v[6:7], v[6:7], v10
	v_cndmask_b32_e32 v3, v7, v3, vcc_lo
	v_cndmask_b32_e32 v2, v6, v2, vcc_lo
	v_mul_f64 v[10:11], v[4:5], v[2:3]
.LBB47_44:
	s_or_b32 exec_lo, exec_lo, s2
                                        ; implicit-def: $vgpr2_vgpr3
                                        ; implicit-def: $vgpr4_vgpr5
.LBB47_45:
	s_andn2_saveexec_b32 s1, s1
	s_cbranch_execz .LBB47_47
; %bb.46:
	v_div_scale_f64 v[6:7], null, v[2:3], v[2:3], v[4:5]
	v_div_scale_f64 v[15:16], vcc_lo, v[4:5], v[2:3], v[4:5]
	v_rcp_f64_e32 v[10:11], v[6:7]
	v_fma_f64 v[13:14], -v[6:7], v[10:11], 1.0
	v_fma_f64 v[10:11], v[10:11], v[13:14], v[10:11]
	v_fma_f64 v[13:14], -v[6:7], v[10:11], 1.0
	v_fma_f64 v[10:11], v[10:11], v[13:14], v[10:11]
	v_mul_f64 v[13:14], v[15:16], v[10:11]
	v_fma_f64 v[6:7], -v[6:7], v[13:14], v[15:16]
	v_div_fmas_f64 v[6:7], v[6:7], v[10:11], v[13:14]
	v_div_fixup_f64 v[4:5], v[6:7], v[2:3], v[4:5]
	v_fma_f64 v[4:5], v[4:5], v[4:5], 1.0
	v_cmp_gt_f64_e32 vcc_lo, 0x10000000, v[4:5]
	v_cndmask_b32_e64 v6, 0, 0x100, vcc_lo
	v_ldexp_f64 v[4:5], v[4:5], v6
	v_rsq_f64_e32 v[6:7], v[4:5]
	v_mul_f64 v[10:11], v[4:5], v[6:7]
	v_mul_f64 v[6:7], v[6:7], 0.5
	v_fma_f64 v[13:14], -v[6:7], v[10:11], 0.5
	v_fma_f64 v[10:11], v[10:11], v[13:14], v[10:11]
	v_fma_f64 v[6:7], v[6:7], v[13:14], v[6:7]
	v_fma_f64 v[13:14], -v[10:11], v[10:11], v[4:5]
	v_fma_f64 v[10:11], v[13:14], v[6:7], v[10:11]
	v_fma_f64 v[13:14], -v[10:11], v[10:11], v[4:5]
	v_fma_f64 v[6:7], v[13:14], v[6:7], v[10:11]
	v_cndmask_b32_e64 v10, 0, 0xffffff80, vcc_lo
	v_cmp_class_f64_e64 vcc_lo, v[4:5], 0x260
	v_ldexp_f64 v[6:7], v[6:7], v10
	v_cndmask_b32_e32 v5, v7, v5, vcc_lo
	v_cndmask_b32_e32 v4, v6, v4, vcc_lo
	v_mul_f64 v[10:11], v[2:3], v[4:5]
.LBB47_47:
	s_or_b32 exec_lo, exec_lo, s1
	v_cmp_gt_f64_e32 vcc_lo, 0x10000000, v[10:11]
	v_cmp_eq_f64_e64 s1, 0, v[10:11]
	v_cndmask_b32_e64 v2, 0, 0x100, vcc_lo
	v_ldexp_f64 v[2:3], v[10:11], v2
	v_rsq_f64_e32 v[4:5], v[2:3]
	v_mul_f64 v[6:7], v[2:3], v[4:5]
	v_mul_f64 v[4:5], v[4:5], 0.5
	v_fma_f64 v[13:14], -v[4:5], v[6:7], 0.5
	v_fma_f64 v[6:7], v[6:7], v[13:14], v[6:7]
	v_fma_f64 v[4:5], v[4:5], v[13:14], v[4:5]
	v_fma_f64 v[13:14], -v[6:7], v[6:7], v[2:3]
	v_fma_f64 v[6:7], v[13:14], v[4:5], v[6:7]
	v_fma_f64 v[13:14], -v[6:7], v[6:7], v[2:3]
	v_fma_f64 v[4:5], v[13:14], v[4:5], v[6:7]
	v_cndmask_b32_e64 v6, 0, 0xffffff80, vcc_lo
	v_cmp_class_f64_e64 vcc_lo, v[2:3], 0x260
	v_ldexp_f64 v[5:6], v[4:5], v6
	v_mov_b32_e32 v4, 0
	v_cndmask_b32_e32 v3, v6, v3, vcc_lo
	v_cndmask_b32_e32 v2, v5, v2, vcc_lo
	v_mov_b32_e32 v5, v4
	global_store_dwordx4 v[0:1], v[2:5], off
	s_and_b32 exec_lo, exec_lo, s1
	s_cbranch_execz .LBB47_52
; %bb.48:
	s_mov_b32 s2, exec_lo
	s_brev_b32 s1, -2
.LBB47_49:                              ; =>This Inner Loop Header: Depth=1
	s_ff1_i32_b32 s4, s2
	v_readlane_b32 s5, v12, s4
	s_lshl_b32 s4, 1, s4
	s_andn2_b32 s2, s2, s4
	s_min_i32 s1, s1, s5
	s_cmp_lg_u32 s2, 0
	s_cbranch_scc1 .LBB47_49
; %bb.50:
	v_mbcnt_lo_u32_b32 v0, exec_lo, 0
	s_mov_b32 s2, exec_lo
	v_cmpx_eq_u32_e32 0, v0
	s_xor_b32 s2, exec_lo, s2
	s_cbranch_execz .LBB47_52
; %bb.51:
	v_mov_b32_e32 v0, 0
	v_mov_b32_e32 v1, s1
	global_atomic_smin v0, v1, s[12:13]
.LBB47_52:
	s_or_b32 exec_lo, exec_lo, s3
	s_and_b32 exec_lo, exec_lo, s0
	s_cbranch_execz .LBB47_54
; %bb.53:
	v_add_co_u32 v0, vcc_lo, s8, v8
	v_add_co_ci_u32_e64 v1, null, s9, v9, vcc_lo
	v_mov_b32_e32 v2, 1
	s_waitcnt lgkmcnt(0)
	s_waitcnt_vscnt null, 0x0
	global_store_dword v[0:1], v2, off
.LBB47_54:
	s_endpgm
	.section	.rodata,"a",@progbits
	.p2align	6, 0x0
	.amdhsa_kernel _ZN9rocsparseL18csric0_hash_kernelILj256ELj64ELj2E21rocsparse_complex_numIdEEEviPKiS4_PT2_S4_PiS4_S7_S7_d21rocsparse_index_base_
		.amdhsa_group_segment_fixed_size 4096
		.amdhsa_private_segment_fixed_size 0
		.amdhsa_kernarg_size 84
		.amdhsa_user_sgpr_count 6
		.amdhsa_user_sgpr_private_segment_buffer 1
		.amdhsa_user_sgpr_dispatch_ptr 0
		.amdhsa_user_sgpr_queue_ptr 0
		.amdhsa_user_sgpr_kernarg_segment_ptr 1
		.amdhsa_user_sgpr_dispatch_id 0
		.amdhsa_user_sgpr_flat_scratch_init 0
		.amdhsa_user_sgpr_private_segment_size 0
		.amdhsa_wavefront_size32 1
		.amdhsa_uses_dynamic_stack 0
		.amdhsa_system_sgpr_private_segment_wavefront_offset 0
		.amdhsa_system_sgpr_workgroup_id_x 1
		.amdhsa_system_sgpr_workgroup_id_y 0
		.amdhsa_system_sgpr_workgroup_id_z 0
		.amdhsa_system_sgpr_workgroup_info 0
		.amdhsa_system_vgpr_workitem_id 0
		.amdhsa_next_free_vgpr 50
		.amdhsa_next_free_sgpr 30
		.amdhsa_reserve_vcc 1
		.amdhsa_reserve_flat_scratch 0
		.amdhsa_float_round_mode_32 0
		.amdhsa_float_round_mode_16_64 0
		.amdhsa_float_denorm_mode_32 3
		.amdhsa_float_denorm_mode_16_64 3
		.amdhsa_dx10_clamp 1
		.amdhsa_ieee_mode 1
		.amdhsa_fp16_overflow 0
		.amdhsa_workgroup_processor_mode 1
		.amdhsa_memory_ordered 1
		.amdhsa_forward_progress 1
		.amdhsa_shared_vgpr_count 0
		.amdhsa_exception_fp_ieee_invalid_op 0
		.amdhsa_exception_fp_denorm_src 0
		.amdhsa_exception_fp_ieee_div_zero 0
		.amdhsa_exception_fp_ieee_overflow 0
		.amdhsa_exception_fp_ieee_underflow 0
		.amdhsa_exception_fp_ieee_inexact 0
		.amdhsa_exception_int_div_zero 0
	.end_amdhsa_kernel
	.section	.text._ZN9rocsparseL18csric0_hash_kernelILj256ELj64ELj2E21rocsparse_complex_numIdEEEviPKiS4_PT2_S4_PiS4_S7_S7_d21rocsparse_index_base_,"axG",@progbits,_ZN9rocsparseL18csric0_hash_kernelILj256ELj64ELj2E21rocsparse_complex_numIdEEEviPKiS4_PT2_S4_PiS4_S7_S7_d21rocsparse_index_base_,comdat
.Lfunc_end47:
	.size	_ZN9rocsparseL18csric0_hash_kernelILj256ELj64ELj2E21rocsparse_complex_numIdEEEviPKiS4_PT2_S4_PiS4_S7_S7_d21rocsparse_index_base_, .Lfunc_end47-_ZN9rocsparseL18csric0_hash_kernelILj256ELj64ELj2E21rocsparse_complex_numIdEEEviPKiS4_PT2_S4_PiS4_S7_S7_d21rocsparse_index_base_
                                        ; -- End function
	.set _ZN9rocsparseL18csric0_hash_kernelILj256ELj64ELj2E21rocsparse_complex_numIdEEEviPKiS4_PT2_S4_PiS4_S7_S7_d21rocsparse_index_base_.num_vgpr, 50
	.set _ZN9rocsparseL18csric0_hash_kernelILj256ELj64ELj2E21rocsparse_complex_numIdEEEviPKiS4_PT2_S4_PiS4_S7_S7_d21rocsparse_index_base_.num_agpr, 0
	.set _ZN9rocsparseL18csric0_hash_kernelILj256ELj64ELj2E21rocsparse_complex_numIdEEEviPKiS4_PT2_S4_PiS4_S7_S7_d21rocsparse_index_base_.numbered_sgpr, 30
	.set _ZN9rocsparseL18csric0_hash_kernelILj256ELj64ELj2E21rocsparse_complex_numIdEEEviPKiS4_PT2_S4_PiS4_S7_S7_d21rocsparse_index_base_.num_named_barrier, 0
	.set _ZN9rocsparseL18csric0_hash_kernelILj256ELj64ELj2E21rocsparse_complex_numIdEEEviPKiS4_PT2_S4_PiS4_S7_S7_d21rocsparse_index_base_.private_seg_size, 0
	.set _ZN9rocsparseL18csric0_hash_kernelILj256ELj64ELj2E21rocsparse_complex_numIdEEEviPKiS4_PT2_S4_PiS4_S7_S7_d21rocsparse_index_base_.uses_vcc, 1
	.set _ZN9rocsparseL18csric0_hash_kernelILj256ELj64ELj2E21rocsparse_complex_numIdEEEviPKiS4_PT2_S4_PiS4_S7_S7_d21rocsparse_index_base_.uses_flat_scratch, 0
	.set _ZN9rocsparseL18csric0_hash_kernelILj256ELj64ELj2E21rocsparse_complex_numIdEEEviPKiS4_PT2_S4_PiS4_S7_S7_d21rocsparse_index_base_.has_dyn_sized_stack, 0
	.set _ZN9rocsparseL18csric0_hash_kernelILj256ELj64ELj2E21rocsparse_complex_numIdEEEviPKiS4_PT2_S4_PiS4_S7_S7_d21rocsparse_index_base_.has_recursion, 0
	.set _ZN9rocsparseL18csric0_hash_kernelILj256ELj64ELj2E21rocsparse_complex_numIdEEEviPKiS4_PT2_S4_PiS4_S7_S7_d21rocsparse_index_base_.has_indirect_call, 0
	.section	.AMDGPU.csdata,"",@progbits
; Kernel info:
; codeLenInByte = 3300
; TotalNumSgprs: 32
; NumVgprs: 50
; ScratchSize: 0
; MemoryBound: 0
; FloatMode: 240
; IeeeMode: 1
; LDSByteSize: 4096 bytes/workgroup (compile time only)
; SGPRBlocks: 0
; VGPRBlocks: 6
; NumSGPRsForWavesPerEU: 32
; NumVGPRsForWavesPerEU: 50
; Occupancy: 16
; WaveLimiterHint : 1
; COMPUTE_PGM_RSRC2:SCRATCH_EN: 0
; COMPUTE_PGM_RSRC2:USER_SGPR: 6
; COMPUTE_PGM_RSRC2:TRAP_HANDLER: 0
; COMPUTE_PGM_RSRC2:TGID_X_EN: 1
; COMPUTE_PGM_RSRC2:TGID_Y_EN: 0
; COMPUTE_PGM_RSRC2:TGID_Z_EN: 0
; COMPUTE_PGM_RSRC2:TIDIG_COMP_CNT: 0
	.section	.text._ZN9rocsparseL18csric0_hash_kernelILj256ELj64ELj4E21rocsparse_complex_numIdEEEviPKiS4_PT2_S4_PiS4_S7_S7_d21rocsparse_index_base_,"axG",@progbits,_ZN9rocsparseL18csric0_hash_kernelILj256ELj64ELj4E21rocsparse_complex_numIdEEEviPKiS4_PT2_S4_PiS4_S7_S7_d21rocsparse_index_base_,comdat
	.globl	_ZN9rocsparseL18csric0_hash_kernelILj256ELj64ELj4E21rocsparse_complex_numIdEEEviPKiS4_PT2_S4_PiS4_S7_S7_d21rocsparse_index_base_ ; -- Begin function _ZN9rocsparseL18csric0_hash_kernelILj256ELj64ELj4E21rocsparse_complex_numIdEEEviPKiS4_PT2_S4_PiS4_S7_S7_d21rocsparse_index_base_
	.p2align	8
	.type	_ZN9rocsparseL18csric0_hash_kernelILj256ELj64ELj4E21rocsparse_complex_numIdEEEviPKiS4_PT2_S4_PiS4_S7_S7_d21rocsparse_index_base_,@function
_ZN9rocsparseL18csric0_hash_kernelILj256ELj64ELj4E21rocsparse_complex_numIdEEEviPKiS4_PT2_S4_PiS4_S7_S7_d21rocsparse_index_base_: ; @_ZN9rocsparseL18csric0_hash_kernelILj256ELj64ELj4E21rocsparse_complex_numIdEEEviPKiS4_PT2_S4_PiS4_S7_S7_d21rocsparse_index_base_
; %bb.0:
	s_clause 0x1
	s_load_dwordx8 s[16:23], s[4:5], 0x8
	s_load_dwordx8 s[8:15], s[4:5], 0x28
	v_lshrrev_b32_e32 v1, 6, v0
	v_and_b32_e32 v28, 63, v0
	s_mov_b32 s0, 0
	v_lshlrev_b32_e32 v3, 10, v1
	v_lshlrev_b32_e32 v4, 2, v28
	v_or_b32_e32 v2, 0xffffffc0, v28
	v_or3_b32 v3, v3, v4, 0x1000
	v_mov_b32_e32 v4, -1
.LBB48_1:                               ; =>This Inner Loop Header: Depth=1
	v_add_nc_u32_e32 v2, 64, v2
	ds_write_b32 v3, v4
	v_add_nc_u32_e32 v3, 0x100, v3
	v_cmp_lt_u32_e32 vcc_lo, 0xbf, v2
	s_or_b32 s0, vcc_lo, s0
	s_andn2_b32 exec_lo, exec_lo, s0
	s_cbranch_execnz .LBB48_1
; %bb.2:
	s_or_b32 exec_lo, exec_lo, s0
	s_load_dword s0, s[4:5], 0x0
	s_lshl_b32 s1, s6, 2
	s_waitcnt lgkmcnt(0)
	buffer_gl0_inv
	v_and_or_b32 v1, 0x3fffffc, s1, v1
	v_cmp_gt_i32_e32 vcc_lo, s0, v1
	s_and_saveexec_b32 s0, vcc_lo
	s_cbranch_execz .LBB48_54
; %bb.3:
	v_lshlrev_b32_e32 v1, 2, v1
	s_load_dword s2, s[4:5], 0x50
	v_lshlrev_b32_e32 v0, 4, v0
	s_mov_b32 s0, exec_lo
	global_load_dword v10, v1, s[10:11]
	v_and_b32_e32 v29, 0xc00, v0
	v_or_b32_e32 v30, 0x1000, v29
	s_waitcnt vmcnt(0)
	v_ashrrev_i32_e32 v11, 31, v10
	v_lshlrev_b64 v[8:9], 2, v[10:11]
	v_add_co_u32 v1, vcc_lo, s16, v8
	v_add_co_ci_u32_e64 v2, null, s17, v9, vcc_lo
	v_add_co_u32 v3, vcc_lo, s22, v8
	v_add_co_ci_u32_e64 v4, null, s23, v9, vcc_lo
	global_load_dwordx2 v[1:2], v[1:2], off
	global_load_dword v11, v[3:4], off
	s_waitcnt vmcnt(1) lgkmcnt(0)
	v_subrev_nc_u32_e32 v12, s2, v1
	v_subrev_nc_u32_e32 v2, s2, v2
	v_add_nc_u32_e32 v0, v12, v28
	v_cmpx_lt_i32_e64 v0, v2
	s_cbranch_execz .LBB48_13
; %bb.4:
	v_mov_b32_e32 v3, -1
	s_mov_b32 s1, 0
	s_branch .LBB48_6
.LBB48_5:                               ;   in Loop: Header=BB48_6 Depth=1
	s_or_b32 exec_lo, exec_lo, s3
	v_add_nc_u32_e32 v0, 64, v0
	v_cmp_ge_i32_e32 vcc_lo, v0, v2
	s_or_b32 s1, vcc_lo, s1
	s_andn2_b32 exec_lo, exec_lo, s1
	s_cbranch_execz .LBB48_13
.LBB48_6:                               ; =>This Loop Header: Depth=1
                                        ;     Child Loop BB48_9 Depth 2
	v_ashrrev_i32_e32 v1, 31, v0
	s_mov_b32 s3, exec_lo
	v_lshlrev_b64 v[4:5], 2, v[0:1]
	v_add_co_u32 v4, vcc_lo, s18, v4
	v_add_co_ci_u32_e64 v5, null, s19, v5, vcc_lo
	global_load_dword v1, v[4:5], off
	s_waitcnt vmcnt(0)
	v_mul_lo_u32 v4, 0x67, v1
	v_and_b32_e32 v4, 0xff, v4
	v_lshl_add_u32 v5, v4, 2, v30
	ds_read_b32 v6, v5
	s_waitcnt lgkmcnt(0)
	v_cmpx_ne_u32_e64 v6, v1
	s_cbranch_execz .LBB48_5
; %bb.7:                                ;   in Loop: Header=BB48_6 Depth=1
	s_mov_b32 s6, 0
                                        ; implicit-def: $sgpr7
                                        ; implicit-def: $sgpr11
                                        ; implicit-def: $sgpr10
	s_inst_prefetch 0x1
	s_branch .LBB48_9
	.p2align	6
.LBB48_8:                               ;   in Loop: Header=BB48_9 Depth=2
	s_or_b32 exec_lo, exec_lo, s24
	s_and_b32 s24, exec_lo, s11
	s_or_b32 s6, s24, s6
	s_andn2_b32 s7, s7, exec_lo
	s_and_b32 s24, s10, exec_lo
	s_or_b32 s7, s7, s24
	s_andn2_b32 exec_lo, exec_lo, s6
	s_cbranch_execz .LBB48_11
.LBB48_9:                               ;   Parent Loop BB48_6 Depth=1
                                        ; =>  This Inner Loop Header: Depth=2
	ds_cmpst_rtn_b32 v5, v5, v3, v1
	v_mov_b32_e32 v6, v4
	s_or_b32 s10, s10, exec_lo
	s_or_b32 s11, s11, exec_lo
                                        ; implicit-def: $vgpr4
	s_waitcnt lgkmcnt(0)
	v_cmp_ne_u32_e32 vcc_lo, -1, v5
                                        ; implicit-def: $vgpr5
	s_and_saveexec_b32 s24, vcc_lo
	s_cbranch_execz .LBB48_8
; %bb.10:                               ;   in Loop: Header=BB48_9 Depth=2
	v_add_nc_u32_e32 v4, 1, v6
	s_andn2_b32 s11, s11, exec_lo
	s_andn2_b32 s10, s10, exec_lo
	v_and_b32_e32 v4, 0xff, v4
	v_lshl_add_u32 v5, v4, 2, v30
	ds_read_b32 v7, v5
	s_waitcnt lgkmcnt(0)
	v_cmp_eq_u32_e32 vcc_lo, v7, v1
	s_and_b32 s25, vcc_lo, exec_lo
	s_or_b32 s11, s11, s25
	s_branch .LBB48_8
.LBB48_11:                              ;   in Loop: Header=BB48_6 Depth=1
	s_inst_prefetch 0x2
	s_or_b32 exec_lo, exec_lo, s6
	s_and_saveexec_b32 s6, s7
	s_xor_b32 s6, exec_lo, s6
	s_cbranch_execz .LBB48_5
; %bb.12:                               ;   in Loop: Header=BB48_6 Depth=1
	v_lshl_add_u32 v1, v6, 2, v29
	ds_write_b32 v1, v0
	s_branch .LBB48_5
.LBB48_13:
	s_or_b32 exec_lo, exec_lo, s0
	v_mov_b32_e32 v14, 0
	v_mov_b32_e32 v16, 0
	;; [unrolled: 1-line block ×4, first 2 shown]
	s_mov_b32 s3, exec_lo
	s_waitcnt vmcnt(0) lgkmcnt(0)
	buffer_gl0_inv
	v_cmpx_lt_i32_e64 v12, v11
	s_cbranch_execz .LBB48_35
; %bb.14:
	v_mbcnt_lo_u32_b32 v31, -1, 0
	v_mov_b32_e32 v14, 0
	v_mov_b32_e32 v16, 0
	v_add_nc_u32_e32 v32, -1, v11
	v_subrev_nc_u32_e32 v33, s2, v28
	v_cmp_eq_u32_e64 s0, 63, v28
	v_mov_b32_e32 v15, 0
	v_or_b32_e32 v34, 32, v31
	v_xor_b32_e32 v35, 16, v31
	v_xor_b32_e32 v36, 8, v31
	;; [unrolled: 1-line block ×4, first 2 shown]
	v_mov_b32_e32 v17, 0
	v_xor_b32_e32 v39, 1, v31
	s_mov_b32 s6, 0
	s_branch .LBB48_17
.LBB48_15:                              ;   in Loop: Header=BB48_17 Depth=1
	s_or_b32 exec_lo, exec_lo, s7
	v_add_nc_u32_e32 v12, 1, v12
	v_cmp_ge_i32_e32 vcc_lo, v12, v11
	s_orn2_b32 s7, vcc_lo, exec_lo
.LBB48_16:                              ;   in Loop: Header=BB48_17 Depth=1
	s_or_b32 exec_lo, exec_lo, s1
	s_and_b32 s1, exec_lo, s7
	s_or_b32 s6, s1, s6
	s_andn2_b32 exec_lo, exec_lo, s6
	s_cbranch_execz .LBB48_34
.LBB48_17:                              ; =>This Loop Header: Depth=1
                                        ;     Child Loop BB48_18 Depth 2
                                        ;     Child Loop BB48_24 Depth 2
                                        ;       Child Loop BB48_27 Depth 3
	v_ashrrev_i32_e32 v13, 31, v12
	s_mov_b32 s1, 0
	v_lshlrev_b64 v[0:1], 2, v[12:13]
	v_lshlrev_b64 v[2:3], 4, v[12:13]
	v_add_co_u32 v0, vcc_lo, s18, v0
	v_add_co_ci_u32_e64 v1, null, s19, v1, vcc_lo
	v_add_co_u32 v18, vcc_lo, s20, v2
	v_add_co_ci_u32_e64 v19, null, s21, v3, vcc_lo
	global_load_dword v0, v[0:1], off
	s_waitcnt vmcnt(0)
	v_subrev_nc_u32_e32 v0, s2, v0
	v_ashrrev_i32_e32 v1, 31, v0
	v_lshlrev_b64 v[4:5], 2, v[0:1]
	v_add_co_u32 v6, vcc_lo, s16, v4
	v_add_co_ci_u32_e64 v7, null, s17, v5, vcc_lo
	v_add_co_u32 v20, vcc_lo, s22, v4
	v_add_co_ci_u32_e64 v21, null, s23, v5, vcc_lo
	global_load_dwordx4 v[0:3], v[18:19], off
	global_load_dword v13, v[6:7], off
	global_load_dword v6, v[20:21], off
	v_add_co_u32 v4, vcc_lo, s8, v4
	v_add_co_ci_u32_e64 v5, null, s9, v5, vcc_lo
.LBB48_18:                              ;   Parent Loop BB48_17 Depth=1
                                        ; =>  This Inner Loop Header: Depth=2
	global_load_dword v7, v[4:5], off glc dlc
	s_waitcnt vmcnt(0)
	v_cmp_ne_u32_e32 vcc_lo, 0, v7
	s_or_b32 s1, vcc_lo, s1
	s_andn2_b32 exec_lo, exec_lo, s1
	s_cbranch_execnz .LBB48_18
; %bb.19:                               ;   in Loop: Header=BB48_17 Depth=1
	s_or_b32 exec_lo, exec_lo, s1
	v_cmp_eq_u32_e32 vcc_lo, -1, v6
	buffer_gl1_inv
	buffer_gl0_inv
	s_mov_b32 s7, -1
	s_waitcnt lgkmcnt(3)
	v_cndmask_b32_e32 v24, v6, v32, vcc_lo
	s_waitcnt lgkmcnt(2)
	v_ashrrev_i32_e32 v25, 31, v24
	v_lshlrev_b64 v[4:5], 4, v[24:25]
	v_add_co_u32 v4, vcc_lo, s20, v4
	v_add_co_ci_u32_e64 v5, null, s21, v5, vcc_lo
	global_load_dwordx4 v[4:7], v[4:5], off
	s_waitcnt vmcnt(0)
	v_cmp_neq_f64_e32 vcc_lo, 0, v[4:5]
	v_cmp_neq_f64_e64 s1, 0, v[6:7]
	s_or_b32 s10, vcc_lo, s1
	s_and_saveexec_b32 s1, s10
	s_cbranch_execz .LBB48_16
; %bb.20:                               ;   in Loop: Header=BB48_17 Depth=1
	v_mov_b32_e32 v20, 0
	v_mov_b32_e32 v22, 0
	v_add_nc_u32_e32 v25, v33, v13
	v_mov_b32_e32 v21, 0
	v_mov_b32_e32 v23, 0
	s_mov_b32 s7, exec_lo
	v_cmpx_lt_i32_e64 v25, v24
	s_cbranch_execz .LBB48_32
; %bb.21:                               ;   in Loop: Header=BB48_17 Depth=1
	v_mov_b32_e32 v20, 0
	v_mov_b32_e32 v22, 0
	;; [unrolled: 1-line block ×4, first 2 shown]
	s_mov_b32 s10, 0
	s_branch .LBB48_24
.LBB48_22:                              ;   in Loop: Header=BB48_24 Depth=2
	s_or_b32 exec_lo, exec_lo, s24
.LBB48_23:                              ;   in Loop: Header=BB48_24 Depth=2
	s_or_b32 exec_lo, exec_lo, s11
	v_add_nc_u32_e32 v25, 64, v25
	v_cmp_ge_i32_e32 vcc_lo, v25, v24
	s_or_b32 s10, vcc_lo, s10
	s_andn2_b32 exec_lo, exec_lo, s10
	s_cbranch_execz .LBB48_31
.LBB48_24:                              ;   Parent Loop BB48_17 Depth=1
                                        ; =>  This Loop Header: Depth=2
                                        ;       Child Loop BB48_27 Depth 3
	s_waitcnt lgkmcnt(1)
	v_ashrrev_i32_e32 v26, 31, v25
	s_mov_b32 s11, exec_lo
	v_lshlrev_b64 v[40:41], 2, v[25:26]
	v_add_co_u32 v40, vcc_lo, s18, v40
	v_add_co_ci_u32_e64 v41, null, s19, v41, vcc_lo
	global_load_dword v13, v[40:41], off
	s_waitcnt vmcnt(0) lgkmcnt(0)
	v_mul_lo_u32 v27, 0x67, v13
	v_and_b32_e32 v41, 0xff, v27
	v_lshl_add_u32 v27, v41, 2, v30
	ds_read_b32 v40, v27
	s_waitcnt lgkmcnt(0)
	v_cmpx_ne_u32_e32 -1, v40
	s_cbranch_execz .LBB48_23
; %bb.25:                               ;   in Loop: Header=BB48_24 Depth=2
	s_mov_b32 s25, 0
                                        ; implicit-def: $sgpr24
                                        ; implicit-def: $sgpr27
                                        ; implicit-def: $sgpr26
	s_inst_prefetch 0x1
	s_branch .LBB48_27
	.p2align	6
.LBB48_26:                              ;   in Loop: Header=BB48_27 Depth=3
	s_or_b32 exec_lo, exec_lo, s28
	s_and_b32 s28, exec_lo, s27
	s_or_b32 s25, s28, s25
	s_andn2_b32 s24, s24, exec_lo
	s_and_b32 s28, s26, exec_lo
	s_or_b32 s24, s24, s28
	s_andn2_b32 exec_lo, exec_lo, s25
	s_cbranch_execz .LBB48_29
.LBB48_27:                              ;   Parent Loop BB48_17 Depth=1
                                        ;     Parent Loop BB48_24 Depth=2
                                        ; =>    This Inner Loop Header: Depth=3
	v_mov_b32_e32 v27, v41
	v_cmp_ne_u32_e32 vcc_lo, v40, v13
	s_or_b32 s26, s26, exec_lo
	s_or_b32 s27, s27, exec_lo
                                        ; implicit-def: $vgpr41
                                        ; implicit-def: $vgpr40
	s_and_saveexec_b32 s28, vcc_lo
	s_cbranch_execz .LBB48_26
; %bb.28:                               ;   in Loop: Header=BB48_27 Depth=3
	v_add_nc_u32_e32 v40, 1, v27
	s_andn2_b32 s27, s27, exec_lo
	s_andn2_b32 s26, s26, exec_lo
	v_and_b32_e32 v41, 0xff, v40
	v_lshl_add_u32 v40, v41, 2, v30
	ds_read_b32 v40, v40
	s_waitcnt lgkmcnt(0)
	v_cmp_eq_u32_e32 vcc_lo, -1, v40
	s_and_b32 s29, vcc_lo, exec_lo
	s_or_b32 s27, s27, s29
	s_branch .LBB48_26
.LBB48_29:                              ;   in Loop: Header=BB48_24 Depth=2
	s_inst_prefetch 0x2
	s_or_b32 exec_lo, exec_lo, s25
	s_and_saveexec_b32 s25, s24
	s_xor_b32 s24, exec_lo, s25
	s_cbranch_execz .LBB48_22
; %bb.30:                               ;   in Loop: Header=BB48_24 Depth=2
	v_lshl_add_u32 v13, v27, 2, v29
	v_lshlrev_b64 v[26:27], 4, v[25:26]
	ds_read_b32 v40, v13
	v_add_co_u32 v26, vcc_lo, s20, v26
	v_add_co_ci_u32_e64 v27, null, s21, v27, vcc_lo
	s_waitcnt lgkmcnt(0)
	v_ashrrev_i32_e32 v41, 31, v40
	v_lshlrev_b64 v[40:41], 4, v[40:41]
	v_add_co_u32 v44, vcc_lo, s20, v40
	v_add_co_ci_u32_e64 v45, null, s21, v41, vcc_lo
	s_clause 0x1
	global_load_dwordx4 v[40:43], v[26:27], off
	global_load_dwordx4 v[44:47], v[44:45], off
	s_waitcnt vmcnt(0)
	v_fma_f64 v[22:23], v[40:41], v[44:45], v[22:23]
	v_fma_f64 v[20:21], v[42:43], v[44:45], v[20:21]
	;; [unrolled: 1-line block ×3, first 2 shown]
	v_fma_f64 v[20:21], v[40:41], -v[46:47], v[20:21]
	s_branch .LBB48_22
.LBB48_31:                              ;   in Loop: Header=BB48_17 Depth=1
	s_or_b32 exec_lo, exec_lo, s10
.LBB48_32:                              ;   in Loop: Header=BB48_17 Depth=1
	s_or_b32 exec_lo, exec_lo, s7
	v_cmp_gt_i32_e32 vcc_lo, 32, v34
	v_cndmask_b32_e32 v13, v31, v34, vcc_lo
	v_cmp_gt_i32_e32 vcc_lo, 32, v35
	v_lshlrev_b32_e32 v13, 2, v13
	ds_bpermute_b32 v24, v13, v22
	ds_bpermute_b32 v25, v13, v23
	s_waitcnt lgkmcnt(3)
	ds_bpermute_b32 v26, v13, v20
	s_waitcnt lgkmcnt(3)
	ds_bpermute_b32 v27, v13, v21
	v_cndmask_b32_e32 v13, v31, v35, vcc_lo
	v_cmp_gt_i32_e32 vcc_lo, 32, v36
	v_lshlrev_b32_e32 v13, 2, v13
	s_waitcnt lgkmcnt(2)
	v_add_f64 v[22:23], v[22:23], v[24:25]
	s_waitcnt lgkmcnt(0)
	v_add_f64 v[20:21], v[20:21], v[26:27]
	ds_bpermute_b32 v24, v13, v22
	ds_bpermute_b32 v25, v13, v23
	ds_bpermute_b32 v26, v13, v20
	ds_bpermute_b32 v27, v13, v21
	v_cndmask_b32_e32 v13, v31, v36, vcc_lo
	v_cmp_gt_i32_e32 vcc_lo, 32, v37
	v_lshlrev_b32_e32 v13, 2, v13
	s_waitcnt lgkmcnt(2)
	v_add_f64 v[22:23], v[22:23], v[24:25]
	s_waitcnt lgkmcnt(0)
	v_add_f64 v[20:21], v[20:21], v[26:27]
	ds_bpermute_b32 v24, v13, v22
	ds_bpermute_b32 v25, v13, v23
	ds_bpermute_b32 v26, v13, v20
	;; [unrolled: 11-line block ×4, first 2 shown]
	ds_bpermute_b32 v27, v13, v25
	v_cndmask_b32_e32 v13, v31, v39, vcc_lo
	v_lshlrev_b32_e32 v13, 2, v13
	s_waitcnt lgkmcnt(2)
	v_add_f64 v[20:21], v[22:23], v[20:21]
	s_waitcnt lgkmcnt(0)
	v_add_f64 v[22:23], v[24:25], v[26:27]
	ds_bpermute_b32 v24, v13, v20
	ds_bpermute_b32 v25, v13, v21
	;; [unrolled: 1-line block ×4, first 2 shown]
	s_and_saveexec_b32 s7, s0
	s_cbranch_execz .LBB48_15
; %bb.33:                               ;   in Loop: Header=BB48_17 Depth=1
	v_mul_f64 v[40:41], v[6:7], v[6:7]
	s_waitcnt lgkmcnt(0)
	v_add_f64 v[22:23], v[22:23], v[26:27]
	v_add_f64 v[20:21], v[20:21], v[24:25]
	v_fma_f64 v[40:41], v[4:5], v[4:5], v[40:41]
	v_add_f64 v[2:3], v[2:3], -v[22:23]
	v_add_f64 v[0:1], v[0:1], -v[20:21]
	v_div_scale_f64 v[42:43], null, v[40:41], v[40:41], 1.0
	v_div_scale_f64 v[48:49], vcc_lo, 1.0, v[40:41], 1.0
	v_rcp_f64_e32 v[44:45], v[42:43]
	v_fma_f64 v[46:47], -v[42:43], v[44:45], 1.0
	v_fma_f64 v[44:45], v[44:45], v[46:47], v[44:45]
	v_fma_f64 v[46:47], -v[42:43], v[44:45], 1.0
	v_fma_f64 v[44:45], v[44:45], v[46:47], v[44:45]
	v_mul_f64 v[46:47], v[48:49], v[44:45]
	v_fma_f64 v[42:43], -v[42:43], v[46:47], v[48:49]
	v_div_fmas_f64 v[42:43], v[42:43], v[44:45], v[46:47]
	v_fma_f64 v[44:45], v[4:5], 0, -v[6:7]
	v_fma_f64 v[4:5], v[6:7], 0, v[4:5]
	v_div_fixup_f64 v[26:27], v[42:43], v[40:41], 1.0
	v_mul_f64 v[6:7], v[44:45], v[26:27]
	v_mul_f64 v[4:5], v[4:5], v[26:27]
	v_mul_f64 v[20:21], v[6:7], -v[2:3]
	v_mul_f64 v[6:7], v[6:7], v[0:1]
	v_fma_f64 v[0:1], v[0:1], v[4:5], v[20:21]
	v_fma_f64 v[2:3], v[2:3], v[4:5], v[6:7]
	;; [unrolled: 1-line block ×4, first 2 shown]
	global_store_dwordx4 v[18:19], v[0:3], off
	v_fma_f64 v[16:17], v[2:3], v[2:3], v[4:5]
	v_fma_f64 v[14:15], v[0:1], -v[2:3], v[6:7]
	s_branch .LBB48_15
.LBB48_34:
	s_or_b32 exec_lo, exec_lo, s6
.LBB48_35:
	s_or_b32 exec_lo, exec_lo, s3
	v_cmp_eq_u32_e64 s0, 63, v28
	v_cmp_lt_i32_e32 vcc_lo, -1, v11
	s_and_b32 s1, s0, vcc_lo
	s_and_saveexec_b32 s3, s1
	s_cbranch_execz .LBB48_52
; %bb.36:
	v_mov_b32_e32 v12, 0
	s_load_dwordx2 s[4:5], s[4:5], 0x48
	v_lshlrev_b64 v[0:1], 4, v[11:12]
	v_add_co_u32 v0, vcc_lo, s20, v0
	v_add_co_ci_u32_e64 v1, null, s21, v1, vcc_lo
	global_load_dwordx4 v[2:5], v[0:1], off
	s_waitcnt lgkmcnt(0)
	v_mul_f64 v[11:12], s[4:5], s[4:5]
	s_waitcnt vmcnt(0)
	v_add_f64 v[2:3], v[2:3], -v[16:17]
	v_add_f64 v[6:7], v[4:5], -v[14:15]
	v_cmp_le_f64_e32 vcc_lo, v[2:3], v[11:12]
	v_cmp_eq_f64_e64 s1, 0, v[6:7]
	v_add_nc_u32_e32 v12, s2, v10
	s_and_b32 s2, vcc_lo, s1
	s_and_saveexec_b32 s1, s2
	s_cbranch_execz .LBB48_41
; %bb.37:
	s_mov_b32 s4, exec_lo
	s_brev_b32 s2, -2
.LBB48_38:                              ; =>This Inner Loop Header: Depth=1
	s_ff1_i32_b32 s5, s4
	v_readlane_b32 s6, v12, s5
	s_lshl_b32 s5, 1, s5
	s_andn2_b32 s4, s4, s5
	s_min_i32 s2, s2, s6
	s_cmp_lg_u32 s4, 0
	s_cbranch_scc1 .LBB48_38
; %bb.39:
	v_mbcnt_lo_u32_b32 v4, exec_lo, 0
	s_mov_b32 s4, exec_lo
	v_cmpx_eq_u32_e32 0, v4
	s_xor_b32 s4, exec_lo, s4
	s_cbranch_execz .LBB48_41
; %bb.40:
	v_mov_b32_e32 v4, 0
	v_mov_b32_e32 v5, s2
	global_atomic_smin v4, v5, s[14:15]
.LBB48_41:
	s_or_b32 exec_lo, exec_lo, s1
	v_cmp_gt_f64_e32 vcc_lo, 0, v[2:3]
	v_xor_b32_e32 v4, 0x80000000, v3
	v_xor_b32_e32 v5, 0x80000000, v7
	s_mov_b32 s1, exec_lo
                                        ; implicit-def: $vgpr10_vgpr11
	v_cndmask_b32_e32 v3, v3, v4, vcc_lo
	v_cmp_gt_f64_e32 vcc_lo, 0, v[6:7]
	v_mov_b32_e32 v4, v6
	v_cndmask_b32_e32 v5, v7, v5, vcc_lo
	v_cmpx_ngt_f64_e32 v[2:3], v[4:5]
	s_xor_b32 s1, exec_lo, s1
	s_cbranch_execz .LBB48_45
; %bb.42:
	v_mov_b32_e32 v10, 0
	v_mov_b32_e32 v11, 0
	s_mov_b32 s2, exec_lo
	v_cmpx_neq_f64_e32 0, v[6:7]
	s_cbranch_execz .LBB48_44
; %bb.43:
	v_div_scale_f64 v[6:7], null, v[4:5], v[4:5], v[2:3]
	v_div_scale_f64 v[15:16], vcc_lo, v[2:3], v[4:5], v[2:3]
	v_rcp_f64_e32 v[10:11], v[6:7]
	v_fma_f64 v[13:14], -v[6:7], v[10:11], 1.0
	v_fma_f64 v[10:11], v[10:11], v[13:14], v[10:11]
	v_fma_f64 v[13:14], -v[6:7], v[10:11], 1.0
	v_fma_f64 v[10:11], v[10:11], v[13:14], v[10:11]
	v_mul_f64 v[13:14], v[15:16], v[10:11]
	v_fma_f64 v[6:7], -v[6:7], v[13:14], v[15:16]
	v_div_fmas_f64 v[6:7], v[6:7], v[10:11], v[13:14]
	v_div_fixup_f64 v[2:3], v[6:7], v[4:5], v[2:3]
	v_fma_f64 v[2:3], v[2:3], v[2:3], 1.0
	v_cmp_gt_f64_e32 vcc_lo, 0x10000000, v[2:3]
	v_cndmask_b32_e64 v6, 0, 0x100, vcc_lo
	v_ldexp_f64 v[2:3], v[2:3], v6
	v_rsq_f64_e32 v[6:7], v[2:3]
	v_mul_f64 v[10:11], v[2:3], v[6:7]
	v_mul_f64 v[6:7], v[6:7], 0.5
	v_fma_f64 v[13:14], -v[6:7], v[10:11], 0.5
	v_fma_f64 v[10:11], v[10:11], v[13:14], v[10:11]
	v_fma_f64 v[6:7], v[6:7], v[13:14], v[6:7]
	v_fma_f64 v[13:14], -v[10:11], v[10:11], v[2:3]
	v_fma_f64 v[10:11], v[13:14], v[6:7], v[10:11]
	v_fma_f64 v[13:14], -v[10:11], v[10:11], v[2:3]
	v_fma_f64 v[6:7], v[13:14], v[6:7], v[10:11]
	v_cndmask_b32_e64 v10, 0, 0xffffff80, vcc_lo
	v_cmp_class_f64_e64 vcc_lo, v[2:3], 0x260
	v_ldexp_f64 v[6:7], v[6:7], v10
	v_cndmask_b32_e32 v3, v7, v3, vcc_lo
	v_cndmask_b32_e32 v2, v6, v2, vcc_lo
	v_mul_f64 v[10:11], v[4:5], v[2:3]
.LBB48_44:
	s_or_b32 exec_lo, exec_lo, s2
                                        ; implicit-def: $vgpr2_vgpr3
                                        ; implicit-def: $vgpr4_vgpr5
.LBB48_45:
	s_andn2_saveexec_b32 s1, s1
	s_cbranch_execz .LBB48_47
; %bb.46:
	v_div_scale_f64 v[6:7], null, v[2:3], v[2:3], v[4:5]
	v_div_scale_f64 v[15:16], vcc_lo, v[4:5], v[2:3], v[4:5]
	v_rcp_f64_e32 v[10:11], v[6:7]
	v_fma_f64 v[13:14], -v[6:7], v[10:11], 1.0
	v_fma_f64 v[10:11], v[10:11], v[13:14], v[10:11]
	v_fma_f64 v[13:14], -v[6:7], v[10:11], 1.0
	v_fma_f64 v[10:11], v[10:11], v[13:14], v[10:11]
	v_mul_f64 v[13:14], v[15:16], v[10:11]
	v_fma_f64 v[6:7], -v[6:7], v[13:14], v[15:16]
	v_div_fmas_f64 v[6:7], v[6:7], v[10:11], v[13:14]
	v_div_fixup_f64 v[4:5], v[6:7], v[2:3], v[4:5]
	v_fma_f64 v[4:5], v[4:5], v[4:5], 1.0
	v_cmp_gt_f64_e32 vcc_lo, 0x10000000, v[4:5]
	v_cndmask_b32_e64 v6, 0, 0x100, vcc_lo
	v_ldexp_f64 v[4:5], v[4:5], v6
	v_rsq_f64_e32 v[6:7], v[4:5]
	v_mul_f64 v[10:11], v[4:5], v[6:7]
	v_mul_f64 v[6:7], v[6:7], 0.5
	v_fma_f64 v[13:14], -v[6:7], v[10:11], 0.5
	v_fma_f64 v[10:11], v[10:11], v[13:14], v[10:11]
	v_fma_f64 v[6:7], v[6:7], v[13:14], v[6:7]
	v_fma_f64 v[13:14], -v[10:11], v[10:11], v[4:5]
	v_fma_f64 v[10:11], v[13:14], v[6:7], v[10:11]
	v_fma_f64 v[13:14], -v[10:11], v[10:11], v[4:5]
	v_fma_f64 v[6:7], v[13:14], v[6:7], v[10:11]
	v_cndmask_b32_e64 v10, 0, 0xffffff80, vcc_lo
	v_cmp_class_f64_e64 vcc_lo, v[4:5], 0x260
	v_ldexp_f64 v[6:7], v[6:7], v10
	v_cndmask_b32_e32 v5, v7, v5, vcc_lo
	v_cndmask_b32_e32 v4, v6, v4, vcc_lo
	v_mul_f64 v[10:11], v[2:3], v[4:5]
.LBB48_47:
	s_or_b32 exec_lo, exec_lo, s1
	v_cmp_gt_f64_e32 vcc_lo, 0x10000000, v[10:11]
	v_cmp_eq_f64_e64 s1, 0, v[10:11]
	v_cndmask_b32_e64 v2, 0, 0x100, vcc_lo
	v_ldexp_f64 v[2:3], v[10:11], v2
	v_rsq_f64_e32 v[4:5], v[2:3]
	v_mul_f64 v[6:7], v[2:3], v[4:5]
	v_mul_f64 v[4:5], v[4:5], 0.5
	v_fma_f64 v[13:14], -v[4:5], v[6:7], 0.5
	v_fma_f64 v[6:7], v[6:7], v[13:14], v[6:7]
	v_fma_f64 v[4:5], v[4:5], v[13:14], v[4:5]
	v_fma_f64 v[13:14], -v[6:7], v[6:7], v[2:3]
	v_fma_f64 v[6:7], v[13:14], v[4:5], v[6:7]
	v_fma_f64 v[13:14], -v[6:7], v[6:7], v[2:3]
	v_fma_f64 v[4:5], v[13:14], v[4:5], v[6:7]
	v_cndmask_b32_e64 v6, 0, 0xffffff80, vcc_lo
	v_cmp_class_f64_e64 vcc_lo, v[2:3], 0x260
	v_ldexp_f64 v[5:6], v[4:5], v6
	v_mov_b32_e32 v4, 0
	v_cndmask_b32_e32 v3, v6, v3, vcc_lo
	v_cndmask_b32_e32 v2, v5, v2, vcc_lo
	v_mov_b32_e32 v5, v4
	global_store_dwordx4 v[0:1], v[2:5], off
	s_and_b32 exec_lo, exec_lo, s1
	s_cbranch_execz .LBB48_52
; %bb.48:
	s_mov_b32 s2, exec_lo
	s_brev_b32 s1, -2
.LBB48_49:                              ; =>This Inner Loop Header: Depth=1
	s_ff1_i32_b32 s4, s2
	v_readlane_b32 s5, v12, s4
	s_lshl_b32 s4, 1, s4
	s_andn2_b32 s2, s2, s4
	s_min_i32 s1, s1, s5
	s_cmp_lg_u32 s2, 0
	s_cbranch_scc1 .LBB48_49
; %bb.50:
	v_mbcnt_lo_u32_b32 v0, exec_lo, 0
	s_mov_b32 s2, exec_lo
	v_cmpx_eq_u32_e32 0, v0
	s_xor_b32 s2, exec_lo, s2
	s_cbranch_execz .LBB48_52
; %bb.51:
	v_mov_b32_e32 v0, 0
	v_mov_b32_e32 v1, s1
	global_atomic_smin v0, v1, s[12:13]
.LBB48_52:
	s_or_b32 exec_lo, exec_lo, s3
	s_and_b32 exec_lo, exec_lo, s0
	s_cbranch_execz .LBB48_54
; %bb.53:
	v_add_co_u32 v0, vcc_lo, s8, v8
	v_add_co_ci_u32_e64 v1, null, s9, v9, vcc_lo
	v_mov_b32_e32 v2, 1
	s_waitcnt lgkmcnt(0)
	s_waitcnt_vscnt null, 0x0
	global_store_dword v[0:1], v2, off
.LBB48_54:
	s_endpgm
	.section	.rodata,"a",@progbits
	.p2align	6, 0x0
	.amdhsa_kernel _ZN9rocsparseL18csric0_hash_kernelILj256ELj64ELj4E21rocsparse_complex_numIdEEEviPKiS4_PT2_S4_PiS4_S7_S7_d21rocsparse_index_base_
		.amdhsa_group_segment_fixed_size 8192
		.amdhsa_private_segment_fixed_size 0
		.amdhsa_kernarg_size 84
		.amdhsa_user_sgpr_count 6
		.amdhsa_user_sgpr_private_segment_buffer 1
		.amdhsa_user_sgpr_dispatch_ptr 0
		.amdhsa_user_sgpr_queue_ptr 0
		.amdhsa_user_sgpr_kernarg_segment_ptr 1
		.amdhsa_user_sgpr_dispatch_id 0
		.amdhsa_user_sgpr_flat_scratch_init 0
		.amdhsa_user_sgpr_private_segment_size 0
		.amdhsa_wavefront_size32 1
		.amdhsa_uses_dynamic_stack 0
		.amdhsa_system_sgpr_private_segment_wavefront_offset 0
		.amdhsa_system_sgpr_workgroup_id_x 1
		.amdhsa_system_sgpr_workgroup_id_y 0
		.amdhsa_system_sgpr_workgroup_id_z 0
		.amdhsa_system_sgpr_workgroup_info 0
		.amdhsa_system_vgpr_workitem_id 0
		.amdhsa_next_free_vgpr 50
		.amdhsa_next_free_sgpr 30
		.amdhsa_reserve_vcc 1
		.amdhsa_reserve_flat_scratch 0
		.amdhsa_float_round_mode_32 0
		.amdhsa_float_round_mode_16_64 0
		.amdhsa_float_denorm_mode_32 3
		.amdhsa_float_denorm_mode_16_64 3
		.amdhsa_dx10_clamp 1
		.amdhsa_ieee_mode 1
		.amdhsa_fp16_overflow 0
		.amdhsa_workgroup_processor_mode 1
		.amdhsa_memory_ordered 1
		.amdhsa_forward_progress 1
		.amdhsa_shared_vgpr_count 0
		.amdhsa_exception_fp_ieee_invalid_op 0
		.amdhsa_exception_fp_denorm_src 0
		.amdhsa_exception_fp_ieee_div_zero 0
		.amdhsa_exception_fp_ieee_overflow 0
		.amdhsa_exception_fp_ieee_underflow 0
		.amdhsa_exception_fp_ieee_inexact 0
		.amdhsa_exception_int_div_zero 0
	.end_amdhsa_kernel
	.section	.text._ZN9rocsparseL18csric0_hash_kernelILj256ELj64ELj4E21rocsparse_complex_numIdEEEviPKiS4_PT2_S4_PiS4_S7_S7_d21rocsparse_index_base_,"axG",@progbits,_ZN9rocsparseL18csric0_hash_kernelILj256ELj64ELj4E21rocsparse_complex_numIdEEEviPKiS4_PT2_S4_PiS4_S7_S7_d21rocsparse_index_base_,comdat
.Lfunc_end48:
	.size	_ZN9rocsparseL18csric0_hash_kernelILj256ELj64ELj4E21rocsparse_complex_numIdEEEviPKiS4_PT2_S4_PiS4_S7_S7_d21rocsparse_index_base_, .Lfunc_end48-_ZN9rocsparseL18csric0_hash_kernelILj256ELj64ELj4E21rocsparse_complex_numIdEEEviPKiS4_PT2_S4_PiS4_S7_S7_d21rocsparse_index_base_
                                        ; -- End function
	.set _ZN9rocsparseL18csric0_hash_kernelILj256ELj64ELj4E21rocsparse_complex_numIdEEEviPKiS4_PT2_S4_PiS4_S7_S7_d21rocsparse_index_base_.num_vgpr, 50
	.set _ZN9rocsparseL18csric0_hash_kernelILj256ELj64ELj4E21rocsparse_complex_numIdEEEviPKiS4_PT2_S4_PiS4_S7_S7_d21rocsparse_index_base_.num_agpr, 0
	.set _ZN9rocsparseL18csric0_hash_kernelILj256ELj64ELj4E21rocsparse_complex_numIdEEEviPKiS4_PT2_S4_PiS4_S7_S7_d21rocsparse_index_base_.numbered_sgpr, 30
	.set _ZN9rocsparseL18csric0_hash_kernelILj256ELj64ELj4E21rocsparse_complex_numIdEEEviPKiS4_PT2_S4_PiS4_S7_S7_d21rocsparse_index_base_.num_named_barrier, 0
	.set _ZN9rocsparseL18csric0_hash_kernelILj256ELj64ELj4E21rocsparse_complex_numIdEEEviPKiS4_PT2_S4_PiS4_S7_S7_d21rocsparse_index_base_.private_seg_size, 0
	.set _ZN9rocsparseL18csric0_hash_kernelILj256ELj64ELj4E21rocsparse_complex_numIdEEEviPKiS4_PT2_S4_PiS4_S7_S7_d21rocsparse_index_base_.uses_vcc, 1
	.set _ZN9rocsparseL18csric0_hash_kernelILj256ELj64ELj4E21rocsparse_complex_numIdEEEviPKiS4_PT2_S4_PiS4_S7_S7_d21rocsparse_index_base_.uses_flat_scratch, 0
	.set _ZN9rocsparseL18csric0_hash_kernelILj256ELj64ELj4E21rocsparse_complex_numIdEEEviPKiS4_PT2_S4_PiS4_S7_S7_d21rocsparse_index_base_.has_dyn_sized_stack, 0
	.set _ZN9rocsparseL18csric0_hash_kernelILj256ELj64ELj4E21rocsparse_complex_numIdEEEviPKiS4_PT2_S4_PiS4_S7_S7_d21rocsparse_index_base_.has_recursion, 0
	.set _ZN9rocsparseL18csric0_hash_kernelILj256ELj64ELj4E21rocsparse_complex_numIdEEEviPKiS4_PT2_S4_PiS4_S7_S7_d21rocsparse_index_base_.has_indirect_call, 0
	.section	.AMDGPU.csdata,"",@progbits
; Kernel info:
; codeLenInByte = 3300
; TotalNumSgprs: 32
; NumVgprs: 50
; ScratchSize: 0
; MemoryBound: 0
; FloatMode: 240
; IeeeMode: 1
; LDSByteSize: 8192 bytes/workgroup (compile time only)
; SGPRBlocks: 0
; VGPRBlocks: 6
; NumSGPRsForWavesPerEU: 32
; NumVGPRsForWavesPerEU: 50
; Occupancy: 16
; WaveLimiterHint : 1
; COMPUTE_PGM_RSRC2:SCRATCH_EN: 0
; COMPUTE_PGM_RSRC2:USER_SGPR: 6
; COMPUTE_PGM_RSRC2:TRAP_HANDLER: 0
; COMPUTE_PGM_RSRC2:TGID_X_EN: 1
; COMPUTE_PGM_RSRC2:TGID_Y_EN: 0
; COMPUTE_PGM_RSRC2:TGID_Z_EN: 0
; COMPUTE_PGM_RSRC2:TIDIG_COMP_CNT: 0
	.section	.text._ZN9rocsparseL18csric0_hash_kernelILj256ELj64ELj8E21rocsparse_complex_numIdEEEviPKiS4_PT2_S4_PiS4_S7_S7_d21rocsparse_index_base_,"axG",@progbits,_ZN9rocsparseL18csric0_hash_kernelILj256ELj64ELj8E21rocsparse_complex_numIdEEEviPKiS4_PT2_S4_PiS4_S7_S7_d21rocsparse_index_base_,comdat
	.globl	_ZN9rocsparseL18csric0_hash_kernelILj256ELj64ELj8E21rocsparse_complex_numIdEEEviPKiS4_PT2_S4_PiS4_S7_S7_d21rocsparse_index_base_ ; -- Begin function _ZN9rocsparseL18csric0_hash_kernelILj256ELj64ELj8E21rocsparse_complex_numIdEEEviPKiS4_PT2_S4_PiS4_S7_S7_d21rocsparse_index_base_
	.p2align	8
	.type	_ZN9rocsparseL18csric0_hash_kernelILj256ELj64ELj8E21rocsparse_complex_numIdEEEviPKiS4_PT2_S4_PiS4_S7_S7_d21rocsparse_index_base_,@function
_ZN9rocsparseL18csric0_hash_kernelILj256ELj64ELj8E21rocsparse_complex_numIdEEEviPKiS4_PT2_S4_PiS4_S7_S7_d21rocsparse_index_base_: ; @_ZN9rocsparseL18csric0_hash_kernelILj256ELj64ELj8E21rocsparse_complex_numIdEEEviPKiS4_PT2_S4_PiS4_S7_S7_d21rocsparse_index_base_
; %bb.0:
	s_clause 0x1
	s_load_dwordx8 s[16:23], s[4:5], 0x8
	s_load_dwordx8 s[8:15], s[4:5], 0x28
	v_lshrrev_b32_e32 v1, 6, v0
	v_and_b32_e32 v28, 63, v0
	s_mov_b32 s0, 0
	v_lshlrev_b32_e32 v3, 11, v1
	v_lshlrev_b32_e32 v4, 2, v28
	v_or_b32_e32 v2, 0xffffffc0, v28
	v_or3_b32 v3, v3, v4, 0x2000
	v_mov_b32_e32 v4, -1
.LBB49_1:                               ; =>This Inner Loop Header: Depth=1
	v_add_nc_u32_e32 v2, 64, v2
	ds_write_b32 v3, v4
	v_add_nc_u32_e32 v3, 0x100, v3
	v_cmp_lt_u32_e32 vcc_lo, 0x1bf, v2
	s_or_b32 s0, vcc_lo, s0
	s_andn2_b32 exec_lo, exec_lo, s0
	s_cbranch_execnz .LBB49_1
; %bb.2:
	s_or_b32 exec_lo, exec_lo, s0
	s_load_dword s0, s[4:5], 0x0
	s_lshl_b32 s1, s6, 2
	s_waitcnt lgkmcnt(0)
	buffer_gl0_inv
	v_and_or_b32 v1, 0x3fffffc, s1, v1
	v_cmp_gt_i32_e32 vcc_lo, s0, v1
	s_and_saveexec_b32 s0, vcc_lo
	s_cbranch_execz .LBB49_54
; %bb.3:
	v_lshlrev_b32_e32 v1, 2, v1
	s_load_dword s2, s[4:5], 0x50
	v_lshlrev_b32_e32 v0, 5, v0
	s_mov_b32 s0, exec_lo
	global_load_dword v10, v1, s[10:11]
	v_and_b32_e32 v29, 0x1800, v0
	v_or_b32_e32 v30, 0x2000, v29
	s_waitcnt vmcnt(0)
	v_ashrrev_i32_e32 v11, 31, v10
	v_lshlrev_b64 v[8:9], 2, v[10:11]
	v_add_co_u32 v1, vcc_lo, s16, v8
	v_add_co_ci_u32_e64 v2, null, s17, v9, vcc_lo
	v_add_co_u32 v3, vcc_lo, s22, v8
	v_add_co_ci_u32_e64 v4, null, s23, v9, vcc_lo
	global_load_dwordx2 v[1:2], v[1:2], off
	global_load_dword v11, v[3:4], off
	s_waitcnt vmcnt(1) lgkmcnt(0)
	v_subrev_nc_u32_e32 v12, s2, v1
	v_subrev_nc_u32_e32 v2, s2, v2
	v_add_nc_u32_e32 v0, v12, v28
	v_cmpx_lt_i32_e64 v0, v2
	s_cbranch_execz .LBB49_13
; %bb.4:
	v_mov_b32_e32 v3, -1
	s_mov_b32 s1, 0
	s_branch .LBB49_6
.LBB49_5:                               ;   in Loop: Header=BB49_6 Depth=1
	s_or_b32 exec_lo, exec_lo, s3
	v_add_nc_u32_e32 v0, 64, v0
	v_cmp_ge_i32_e32 vcc_lo, v0, v2
	s_or_b32 s1, vcc_lo, s1
	s_andn2_b32 exec_lo, exec_lo, s1
	s_cbranch_execz .LBB49_13
.LBB49_6:                               ; =>This Loop Header: Depth=1
                                        ;     Child Loop BB49_9 Depth 2
	v_ashrrev_i32_e32 v1, 31, v0
	s_mov_b32 s3, exec_lo
	v_lshlrev_b64 v[4:5], 2, v[0:1]
	v_add_co_u32 v4, vcc_lo, s18, v4
	v_add_co_ci_u32_e64 v5, null, s19, v5, vcc_lo
	global_load_dword v1, v[4:5], off
	s_waitcnt vmcnt(0)
	v_mul_lo_u32 v4, 0x67, v1
	v_and_b32_e32 v4, 0x1ff, v4
	v_lshl_add_u32 v5, v4, 2, v30
	ds_read_b32 v6, v5
	s_waitcnt lgkmcnt(0)
	v_cmpx_ne_u32_e64 v6, v1
	s_cbranch_execz .LBB49_5
; %bb.7:                                ;   in Loop: Header=BB49_6 Depth=1
	s_mov_b32 s6, 0
                                        ; implicit-def: $sgpr7
                                        ; implicit-def: $sgpr11
                                        ; implicit-def: $sgpr10
	s_inst_prefetch 0x1
	s_branch .LBB49_9
	.p2align	6
.LBB49_8:                               ;   in Loop: Header=BB49_9 Depth=2
	s_or_b32 exec_lo, exec_lo, s24
	s_and_b32 s24, exec_lo, s11
	s_or_b32 s6, s24, s6
	s_andn2_b32 s7, s7, exec_lo
	s_and_b32 s24, s10, exec_lo
	s_or_b32 s7, s7, s24
	s_andn2_b32 exec_lo, exec_lo, s6
	s_cbranch_execz .LBB49_11
.LBB49_9:                               ;   Parent Loop BB49_6 Depth=1
                                        ; =>  This Inner Loop Header: Depth=2
	ds_cmpst_rtn_b32 v5, v5, v3, v1
	v_mov_b32_e32 v6, v4
	s_or_b32 s10, s10, exec_lo
	s_or_b32 s11, s11, exec_lo
                                        ; implicit-def: $vgpr4
	s_waitcnt lgkmcnt(0)
	v_cmp_ne_u32_e32 vcc_lo, -1, v5
                                        ; implicit-def: $vgpr5
	s_and_saveexec_b32 s24, vcc_lo
	s_cbranch_execz .LBB49_8
; %bb.10:                               ;   in Loop: Header=BB49_9 Depth=2
	v_add_nc_u32_e32 v4, 1, v6
	s_andn2_b32 s11, s11, exec_lo
	s_andn2_b32 s10, s10, exec_lo
	v_and_b32_e32 v4, 0x1ff, v4
	v_lshl_add_u32 v5, v4, 2, v30
	ds_read_b32 v7, v5
	s_waitcnt lgkmcnt(0)
	v_cmp_eq_u32_e32 vcc_lo, v7, v1
	s_and_b32 s25, vcc_lo, exec_lo
	s_or_b32 s11, s11, s25
	s_branch .LBB49_8
.LBB49_11:                              ;   in Loop: Header=BB49_6 Depth=1
	s_inst_prefetch 0x2
	s_or_b32 exec_lo, exec_lo, s6
	s_and_saveexec_b32 s6, s7
	s_xor_b32 s6, exec_lo, s6
	s_cbranch_execz .LBB49_5
; %bb.12:                               ;   in Loop: Header=BB49_6 Depth=1
	v_lshl_add_u32 v1, v6, 2, v29
	ds_write_b32 v1, v0
	s_branch .LBB49_5
.LBB49_13:
	s_or_b32 exec_lo, exec_lo, s0
	v_mov_b32_e32 v14, 0
	v_mov_b32_e32 v16, 0
	;; [unrolled: 1-line block ×4, first 2 shown]
	s_mov_b32 s3, exec_lo
	s_waitcnt vmcnt(0) lgkmcnt(0)
	buffer_gl0_inv
	v_cmpx_lt_i32_e64 v12, v11
	s_cbranch_execz .LBB49_35
; %bb.14:
	v_mbcnt_lo_u32_b32 v31, -1, 0
	v_mov_b32_e32 v14, 0
	v_mov_b32_e32 v16, 0
	v_add_nc_u32_e32 v32, -1, v11
	v_subrev_nc_u32_e32 v33, s2, v28
	v_cmp_eq_u32_e64 s0, 63, v28
	v_mov_b32_e32 v15, 0
	v_or_b32_e32 v34, 32, v31
	v_xor_b32_e32 v35, 16, v31
	v_xor_b32_e32 v36, 8, v31
	v_xor_b32_e32 v37, 4, v31
	v_xor_b32_e32 v38, 2, v31
	v_mov_b32_e32 v17, 0
	v_xor_b32_e32 v39, 1, v31
	s_mov_b32 s6, 0
	s_branch .LBB49_17
.LBB49_15:                              ;   in Loop: Header=BB49_17 Depth=1
	s_or_b32 exec_lo, exec_lo, s7
	v_add_nc_u32_e32 v12, 1, v12
	v_cmp_ge_i32_e32 vcc_lo, v12, v11
	s_orn2_b32 s7, vcc_lo, exec_lo
.LBB49_16:                              ;   in Loop: Header=BB49_17 Depth=1
	s_or_b32 exec_lo, exec_lo, s1
	s_and_b32 s1, exec_lo, s7
	s_or_b32 s6, s1, s6
	s_andn2_b32 exec_lo, exec_lo, s6
	s_cbranch_execz .LBB49_34
.LBB49_17:                              ; =>This Loop Header: Depth=1
                                        ;     Child Loop BB49_18 Depth 2
                                        ;     Child Loop BB49_24 Depth 2
                                        ;       Child Loop BB49_27 Depth 3
	v_ashrrev_i32_e32 v13, 31, v12
	s_mov_b32 s1, 0
	v_lshlrev_b64 v[0:1], 2, v[12:13]
	v_lshlrev_b64 v[2:3], 4, v[12:13]
	v_add_co_u32 v0, vcc_lo, s18, v0
	v_add_co_ci_u32_e64 v1, null, s19, v1, vcc_lo
	v_add_co_u32 v18, vcc_lo, s20, v2
	v_add_co_ci_u32_e64 v19, null, s21, v3, vcc_lo
	global_load_dword v0, v[0:1], off
	s_waitcnt vmcnt(0)
	v_subrev_nc_u32_e32 v0, s2, v0
	v_ashrrev_i32_e32 v1, 31, v0
	v_lshlrev_b64 v[4:5], 2, v[0:1]
	v_add_co_u32 v6, vcc_lo, s16, v4
	v_add_co_ci_u32_e64 v7, null, s17, v5, vcc_lo
	v_add_co_u32 v20, vcc_lo, s22, v4
	v_add_co_ci_u32_e64 v21, null, s23, v5, vcc_lo
	global_load_dwordx4 v[0:3], v[18:19], off
	global_load_dword v13, v[6:7], off
	global_load_dword v6, v[20:21], off
	v_add_co_u32 v4, vcc_lo, s8, v4
	v_add_co_ci_u32_e64 v5, null, s9, v5, vcc_lo
.LBB49_18:                              ;   Parent Loop BB49_17 Depth=1
                                        ; =>  This Inner Loop Header: Depth=2
	global_load_dword v7, v[4:5], off glc dlc
	s_waitcnt vmcnt(0)
	v_cmp_ne_u32_e32 vcc_lo, 0, v7
	s_or_b32 s1, vcc_lo, s1
	s_andn2_b32 exec_lo, exec_lo, s1
	s_cbranch_execnz .LBB49_18
; %bb.19:                               ;   in Loop: Header=BB49_17 Depth=1
	s_or_b32 exec_lo, exec_lo, s1
	v_cmp_eq_u32_e32 vcc_lo, -1, v6
	buffer_gl1_inv
	buffer_gl0_inv
	s_mov_b32 s7, -1
	s_waitcnt lgkmcnt(3)
	v_cndmask_b32_e32 v24, v6, v32, vcc_lo
	s_waitcnt lgkmcnt(2)
	v_ashrrev_i32_e32 v25, 31, v24
	v_lshlrev_b64 v[4:5], 4, v[24:25]
	v_add_co_u32 v4, vcc_lo, s20, v4
	v_add_co_ci_u32_e64 v5, null, s21, v5, vcc_lo
	global_load_dwordx4 v[4:7], v[4:5], off
	s_waitcnt vmcnt(0)
	v_cmp_neq_f64_e32 vcc_lo, 0, v[4:5]
	v_cmp_neq_f64_e64 s1, 0, v[6:7]
	s_or_b32 s10, vcc_lo, s1
	s_and_saveexec_b32 s1, s10
	s_cbranch_execz .LBB49_16
; %bb.20:                               ;   in Loop: Header=BB49_17 Depth=1
	v_mov_b32_e32 v20, 0
	v_mov_b32_e32 v22, 0
	v_add_nc_u32_e32 v25, v33, v13
	v_mov_b32_e32 v21, 0
	v_mov_b32_e32 v23, 0
	s_mov_b32 s7, exec_lo
	v_cmpx_lt_i32_e64 v25, v24
	s_cbranch_execz .LBB49_32
; %bb.21:                               ;   in Loop: Header=BB49_17 Depth=1
	v_mov_b32_e32 v20, 0
	v_mov_b32_e32 v22, 0
	;; [unrolled: 1-line block ×4, first 2 shown]
	s_mov_b32 s10, 0
	s_branch .LBB49_24
.LBB49_22:                              ;   in Loop: Header=BB49_24 Depth=2
	s_or_b32 exec_lo, exec_lo, s24
.LBB49_23:                              ;   in Loop: Header=BB49_24 Depth=2
	s_or_b32 exec_lo, exec_lo, s11
	v_add_nc_u32_e32 v25, 64, v25
	v_cmp_ge_i32_e32 vcc_lo, v25, v24
	s_or_b32 s10, vcc_lo, s10
	s_andn2_b32 exec_lo, exec_lo, s10
	s_cbranch_execz .LBB49_31
.LBB49_24:                              ;   Parent Loop BB49_17 Depth=1
                                        ; =>  This Loop Header: Depth=2
                                        ;       Child Loop BB49_27 Depth 3
	s_waitcnt lgkmcnt(1)
	v_ashrrev_i32_e32 v26, 31, v25
	s_mov_b32 s11, exec_lo
	v_lshlrev_b64 v[40:41], 2, v[25:26]
	v_add_co_u32 v40, vcc_lo, s18, v40
	v_add_co_ci_u32_e64 v41, null, s19, v41, vcc_lo
	global_load_dword v13, v[40:41], off
	s_waitcnt vmcnt(0) lgkmcnt(0)
	v_mul_lo_u32 v27, 0x67, v13
	v_and_b32_e32 v41, 0x1ff, v27
	v_lshl_add_u32 v27, v41, 2, v30
	ds_read_b32 v40, v27
	s_waitcnt lgkmcnt(0)
	v_cmpx_ne_u32_e32 -1, v40
	s_cbranch_execz .LBB49_23
; %bb.25:                               ;   in Loop: Header=BB49_24 Depth=2
	s_mov_b32 s25, 0
                                        ; implicit-def: $sgpr24
                                        ; implicit-def: $sgpr27
                                        ; implicit-def: $sgpr26
	s_inst_prefetch 0x1
	s_branch .LBB49_27
	.p2align	6
.LBB49_26:                              ;   in Loop: Header=BB49_27 Depth=3
	s_or_b32 exec_lo, exec_lo, s28
	s_and_b32 s28, exec_lo, s27
	s_or_b32 s25, s28, s25
	s_andn2_b32 s24, s24, exec_lo
	s_and_b32 s28, s26, exec_lo
	s_or_b32 s24, s24, s28
	s_andn2_b32 exec_lo, exec_lo, s25
	s_cbranch_execz .LBB49_29
.LBB49_27:                              ;   Parent Loop BB49_17 Depth=1
                                        ;     Parent Loop BB49_24 Depth=2
                                        ; =>    This Inner Loop Header: Depth=3
	v_mov_b32_e32 v27, v41
	v_cmp_ne_u32_e32 vcc_lo, v40, v13
	s_or_b32 s26, s26, exec_lo
	s_or_b32 s27, s27, exec_lo
                                        ; implicit-def: $vgpr41
                                        ; implicit-def: $vgpr40
	s_and_saveexec_b32 s28, vcc_lo
	s_cbranch_execz .LBB49_26
; %bb.28:                               ;   in Loop: Header=BB49_27 Depth=3
	v_add_nc_u32_e32 v40, 1, v27
	s_andn2_b32 s27, s27, exec_lo
	s_andn2_b32 s26, s26, exec_lo
	v_and_b32_e32 v41, 0x1ff, v40
	v_lshl_add_u32 v40, v41, 2, v30
	ds_read_b32 v40, v40
	s_waitcnt lgkmcnt(0)
	v_cmp_eq_u32_e32 vcc_lo, -1, v40
	s_and_b32 s29, vcc_lo, exec_lo
	s_or_b32 s27, s27, s29
	s_branch .LBB49_26
.LBB49_29:                              ;   in Loop: Header=BB49_24 Depth=2
	s_inst_prefetch 0x2
	s_or_b32 exec_lo, exec_lo, s25
	s_and_saveexec_b32 s25, s24
	s_xor_b32 s24, exec_lo, s25
	s_cbranch_execz .LBB49_22
; %bb.30:                               ;   in Loop: Header=BB49_24 Depth=2
	v_lshl_add_u32 v13, v27, 2, v29
	v_lshlrev_b64 v[26:27], 4, v[25:26]
	ds_read_b32 v40, v13
	v_add_co_u32 v26, vcc_lo, s20, v26
	v_add_co_ci_u32_e64 v27, null, s21, v27, vcc_lo
	s_waitcnt lgkmcnt(0)
	v_ashrrev_i32_e32 v41, 31, v40
	v_lshlrev_b64 v[40:41], 4, v[40:41]
	v_add_co_u32 v44, vcc_lo, s20, v40
	v_add_co_ci_u32_e64 v45, null, s21, v41, vcc_lo
	s_clause 0x1
	global_load_dwordx4 v[40:43], v[26:27], off
	global_load_dwordx4 v[44:47], v[44:45], off
	s_waitcnt vmcnt(0)
	v_fma_f64 v[22:23], v[40:41], v[44:45], v[22:23]
	v_fma_f64 v[20:21], v[42:43], v[44:45], v[20:21]
	v_fma_f64 v[22:23], v[42:43], v[46:47], v[22:23]
	v_fma_f64 v[20:21], v[40:41], -v[46:47], v[20:21]
	s_branch .LBB49_22
.LBB49_31:                              ;   in Loop: Header=BB49_17 Depth=1
	s_or_b32 exec_lo, exec_lo, s10
.LBB49_32:                              ;   in Loop: Header=BB49_17 Depth=1
	s_or_b32 exec_lo, exec_lo, s7
	v_cmp_gt_i32_e32 vcc_lo, 32, v34
	v_cndmask_b32_e32 v13, v31, v34, vcc_lo
	v_cmp_gt_i32_e32 vcc_lo, 32, v35
	v_lshlrev_b32_e32 v13, 2, v13
	ds_bpermute_b32 v24, v13, v22
	ds_bpermute_b32 v25, v13, v23
	s_waitcnt lgkmcnt(3)
	ds_bpermute_b32 v26, v13, v20
	s_waitcnt lgkmcnt(3)
	ds_bpermute_b32 v27, v13, v21
	v_cndmask_b32_e32 v13, v31, v35, vcc_lo
	v_cmp_gt_i32_e32 vcc_lo, 32, v36
	v_lshlrev_b32_e32 v13, 2, v13
	s_waitcnt lgkmcnt(2)
	v_add_f64 v[22:23], v[22:23], v[24:25]
	s_waitcnt lgkmcnt(0)
	v_add_f64 v[20:21], v[20:21], v[26:27]
	ds_bpermute_b32 v24, v13, v22
	ds_bpermute_b32 v25, v13, v23
	ds_bpermute_b32 v26, v13, v20
	ds_bpermute_b32 v27, v13, v21
	v_cndmask_b32_e32 v13, v31, v36, vcc_lo
	v_cmp_gt_i32_e32 vcc_lo, 32, v37
	v_lshlrev_b32_e32 v13, 2, v13
	s_waitcnt lgkmcnt(2)
	v_add_f64 v[22:23], v[22:23], v[24:25]
	s_waitcnt lgkmcnt(0)
	v_add_f64 v[20:21], v[20:21], v[26:27]
	ds_bpermute_b32 v24, v13, v22
	ds_bpermute_b32 v25, v13, v23
	ds_bpermute_b32 v26, v13, v20
	;; [unrolled: 11-line block ×4, first 2 shown]
	ds_bpermute_b32 v27, v13, v25
	v_cndmask_b32_e32 v13, v31, v39, vcc_lo
	v_lshlrev_b32_e32 v13, 2, v13
	s_waitcnt lgkmcnt(2)
	v_add_f64 v[20:21], v[22:23], v[20:21]
	s_waitcnt lgkmcnt(0)
	v_add_f64 v[22:23], v[24:25], v[26:27]
	ds_bpermute_b32 v24, v13, v20
	ds_bpermute_b32 v25, v13, v21
	;; [unrolled: 1-line block ×4, first 2 shown]
	s_and_saveexec_b32 s7, s0
	s_cbranch_execz .LBB49_15
; %bb.33:                               ;   in Loop: Header=BB49_17 Depth=1
	v_mul_f64 v[40:41], v[6:7], v[6:7]
	s_waitcnt lgkmcnt(0)
	v_add_f64 v[22:23], v[22:23], v[26:27]
	v_add_f64 v[20:21], v[20:21], v[24:25]
	v_fma_f64 v[40:41], v[4:5], v[4:5], v[40:41]
	v_add_f64 v[2:3], v[2:3], -v[22:23]
	v_add_f64 v[0:1], v[0:1], -v[20:21]
	v_div_scale_f64 v[42:43], null, v[40:41], v[40:41], 1.0
	v_div_scale_f64 v[48:49], vcc_lo, 1.0, v[40:41], 1.0
	v_rcp_f64_e32 v[44:45], v[42:43]
	v_fma_f64 v[46:47], -v[42:43], v[44:45], 1.0
	v_fma_f64 v[44:45], v[44:45], v[46:47], v[44:45]
	v_fma_f64 v[46:47], -v[42:43], v[44:45], 1.0
	v_fma_f64 v[44:45], v[44:45], v[46:47], v[44:45]
	v_mul_f64 v[46:47], v[48:49], v[44:45]
	v_fma_f64 v[42:43], -v[42:43], v[46:47], v[48:49]
	v_div_fmas_f64 v[42:43], v[42:43], v[44:45], v[46:47]
	v_fma_f64 v[44:45], v[4:5], 0, -v[6:7]
	v_fma_f64 v[4:5], v[6:7], 0, v[4:5]
	v_div_fixup_f64 v[26:27], v[42:43], v[40:41], 1.0
	v_mul_f64 v[6:7], v[44:45], v[26:27]
	v_mul_f64 v[4:5], v[4:5], v[26:27]
	v_mul_f64 v[20:21], v[6:7], -v[2:3]
	v_mul_f64 v[6:7], v[6:7], v[0:1]
	v_fma_f64 v[0:1], v[0:1], v[4:5], v[20:21]
	v_fma_f64 v[2:3], v[2:3], v[4:5], v[6:7]
	;; [unrolled: 1-line block ×4, first 2 shown]
	global_store_dwordx4 v[18:19], v[0:3], off
	v_fma_f64 v[16:17], v[2:3], v[2:3], v[4:5]
	v_fma_f64 v[14:15], v[0:1], -v[2:3], v[6:7]
	s_branch .LBB49_15
.LBB49_34:
	s_or_b32 exec_lo, exec_lo, s6
.LBB49_35:
	s_or_b32 exec_lo, exec_lo, s3
	v_cmp_eq_u32_e64 s0, 63, v28
	v_cmp_lt_i32_e32 vcc_lo, -1, v11
	s_and_b32 s1, s0, vcc_lo
	s_and_saveexec_b32 s3, s1
	s_cbranch_execz .LBB49_52
; %bb.36:
	v_mov_b32_e32 v12, 0
	s_load_dwordx2 s[4:5], s[4:5], 0x48
	v_lshlrev_b64 v[0:1], 4, v[11:12]
	v_add_co_u32 v0, vcc_lo, s20, v0
	v_add_co_ci_u32_e64 v1, null, s21, v1, vcc_lo
	global_load_dwordx4 v[2:5], v[0:1], off
	s_waitcnt lgkmcnt(0)
	v_mul_f64 v[11:12], s[4:5], s[4:5]
	s_waitcnt vmcnt(0)
	v_add_f64 v[2:3], v[2:3], -v[16:17]
	v_add_f64 v[6:7], v[4:5], -v[14:15]
	v_cmp_le_f64_e32 vcc_lo, v[2:3], v[11:12]
	v_cmp_eq_f64_e64 s1, 0, v[6:7]
	v_add_nc_u32_e32 v12, s2, v10
	s_and_b32 s2, vcc_lo, s1
	s_and_saveexec_b32 s1, s2
	s_cbranch_execz .LBB49_41
; %bb.37:
	s_mov_b32 s4, exec_lo
	s_brev_b32 s2, -2
.LBB49_38:                              ; =>This Inner Loop Header: Depth=1
	s_ff1_i32_b32 s5, s4
	v_readlane_b32 s6, v12, s5
	s_lshl_b32 s5, 1, s5
	s_andn2_b32 s4, s4, s5
	s_min_i32 s2, s2, s6
	s_cmp_lg_u32 s4, 0
	s_cbranch_scc1 .LBB49_38
; %bb.39:
	v_mbcnt_lo_u32_b32 v4, exec_lo, 0
	s_mov_b32 s4, exec_lo
	v_cmpx_eq_u32_e32 0, v4
	s_xor_b32 s4, exec_lo, s4
	s_cbranch_execz .LBB49_41
; %bb.40:
	v_mov_b32_e32 v4, 0
	v_mov_b32_e32 v5, s2
	global_atomic_smin v4, v5, s[14:15]
.LBB49_41:
	s_or_b32 exec_lo, exec_lo, s1
	v_cmp_gt_f64_e32 vcc_lo, 0, v[2:3]
	v_xor_b32_e32 v4, 0x80000000, v3
	v_xor_b32_e32 v5, 0x80000000, v7
	s_mov_b32 s1, exec_lo
                                        ; implicit-def: $vgpr10_vgpr11
	v_cndmask_b32_e32 v3, v3, v4, vcc_lo
	v_cmp_gt_f64_e32 vcc_lo, 0, v[6:7]
	v_mov_b32_e32 v4, v6
	v_cndmask_b32_e32 v5, v7, v5, vcc_lo
	v_cmpx_ngt_f64_e32 v[2:3], v[4:5]
	s_xor_b32 s1, exec_lo, s1
	s_cbranch_execz .LBB49_45
; %bb.42:
	v_mov_b32_e32 v10, 0
	v_mov_b32_e32 v11, 0
	s_mov_b32 s2, exec_lo
	v_cmpx_neq_f64_e32 0, v[6:7]
	s_cbranch_execz .LBB49_44
; %bb.43:
	v_div_scale_f64 v[6:7], null, v[4:5], v[4:5], v[2:3]
	v_div_scale_f64 v[15:16], vcc_lo, v[2:3], v[4:5], v[2:3]
	v_rcp_f64_e32 v[10:11], v[6:7]
	v_fma_f64 v[13:14], -v[6:7], v[10:11], 1.0
	v_fma_f64 v[10:11], v[10:11], v[13:14], v[10:11]
	v_fma_f64 v[13:14], -v[6:7], v[10:11], 1.0
	v_fma_f64 v[10:11], v[10:11], v[13:14], v[10:11]
	v_mul_f64 v[13:14], v[15:16], v[10:11]
	v_fma_f64 v[6:7], -v[6:7], v[13:14], v[15:16]
	v_div_fmas_f64 v[6:7], v[6:7], v[10:11], v[13:14]
	v_div_fixup_f64 v[2:3], v[6:7], v[4:5], v[2:3]
	v_fma_f64 v[2:3], v[2:3], v[2:3], 1.0
	v_cmp_gt_f64_e32 vcc_lo, 0x10000000, v[2:3]
	v_cndmask_b32_e64 v6, 0, 0x100, vcc_lo
	v_ldexp_f64 v[2:3], v[2:3], v6
	v_rsq_f64_e32 v[6:7], v[2:3]
	v_mul_f64 v[10:11], v[2:3], v[6:7]
	v_mul_f64 v[6:7], v[6:7], 0.5
	v_fma_f64 v[13:14], -v[6:7], v[10:11], 0.5
	v_fma_f64 v[10:11], v[10:11], v[13:14], v[10:11]
	v_fma_f64 v[6:7], v[6:7], v[13:14], v[6:7]
	v_fma_f64 v[13:14], -v[10:11], v[10:11], v[2:3]
	v_fma_f64 v[10:11], v[13:14], v[6:7], v[10:11]
	v_fma_f64 v[13:14], -v[10:11], v[10:11], v[2:3]
	v_fma_f64 v[6:7], v[13:14], v[6:7], v[10:11]
	v_cndmask_b32_e64 v10, 0, 0xffffff80, vcc_lo
	v_cmp_class_f64_e64 vcc_lo, v[2:3], 0x260
	v_ldexp_f64 v[6:7], v[6:7], v10
	v_cndmask_b32_e32 v3, v7, v3, vcc_lo
	v_cndmask_b32_e32 v2, v6, v2, vcc_lo
	v_mul_f64 v[10:11], v[4:5], v[2:3]
.LBB49_44:
	s_or_b32 exec_lo, exec_lo, s2
                                        ; implicit-def: $vgpr2_vgpr3
                                        ; implicit-def: $vgpr4_vgpr5
.LBB49_45:
	s_andn2_saveexec_b32 s1, s1
	s_cbranch_execz .LBB49_47
; %bb.46:
	v_div_scale_f64 v[6:7], null, v[2:3], v[2:3], v[4:5]
	v_div_scale_f64 v[15:16], vcc_lo, v[4:5], v[2:3], v[4:5]
	v_rcp_f64_e32 v[10:11], v[6:7]
	v_fma_f64 v[13:14], -v[6:7], v[10:11], 1.0
	v_fma_f64 v[10:11], v[10:11], v[13:14], v[10:11]
	v_fma_f64 v[13:14], -v[6:7], v[10:11], 1.0
	v_fma_f64 v[10:11], v[10:11], v[13:14], v[10:11]
	v_mul_f64 v[13:14], v[15:16], v[10:11]
	v_fma_f64 v[6:7], -v[6:7], v[13:14], v[15:16]
	v_div_fmas_f64 v[6:7], v[6:7], v[10:11], v[13:14]
	v_div_fixup_f64 v[4:5], v[6:7], v[2:3], v[4:5]
	v_fma_f64 v[4:5], v[4:5], v[4:5], 1.0
	v_cmp_gt_f64_e32 vcc_lo, 0x10000000, v[4:5]
	v_cndmask_b32_e64 v6, 0, 0x100, vcc_lo
	v_ldexp_f64 v[4:5], v[4:5], v6
	v_rsq_f64_e32 v[6:7], v[4:5]
	v_mul_f64 v[10:11], v[4:5], v[6:7]
	v_mul_f64 v[6:7], v[6:7], 0.5
	v_fma_f64 v[13:14], -v[6:7], v[10:11], 0.5
	v_fma_f64 v[10:11], v[10:11], v[13:14], v[10:11]
	v_fma_f64 v[6:7], v[6:7], v[13:14], v[6:7]
	v_fma_f64 v[13:14], -v[10:11], v[10:11], v[4:5]
	v_fma_f64 v[10:11], v[13:14], v[6:7], v[10:11]
	v_fma_f64 v[13:14], -v[10:11], v[10:11], v[4:5]
	v_fma_f64 v[6:7], v[13:14], v[6:7], v[10:11]
	v_cndmask_b32_e64 v10, 0, 0xffffff80, vcc_lo
	v_cmp_class_f64_e64 vcc_lo, v[4:5], 0x260
	v_ldexp_f64 v[6:7], v[6:7], v10
	v_cndmask_b32_e32 v5, v7, v5, vcc_lo
	v_cndmask_b32_e32 v4, v6, v4, vcc_lo
	v_mul_f64 v[10:11], v[2:3], v[4:5]
.LBB49_47:
	s_or_b32 exec_lo, exec_lo, s1
	v_cmp_gt_f64_e32 vcc_lo, 0x10000000, v[10:11]
	v_cmp_eq_f64_e64 s1, 0, v[10:11]
	v_cndmask_b32_e64 v2, 0, 0x100, vcc_lo
	v_ldexp_f64 v[2:3], v[10:11], v2
	v_rsq_f64_e32 v[4:5], v[2:3]
	v_mul_f64 v[6:7], v[2:3], v[4:5]
	v_mul_f64 v[4:5], v[4:5], 0.5
	v_fma_f64 v[13:14], -v[4:5], v[6:7], 0.5
	v_fma_f64 v[6:7], v[6:7], v[13:14], v[6:7]
	v_fma_f64 v[4:5], v[4:5], v[13:14], v[4:5]
	v_fma_f64 v[13:14], -v[6:7], v[6:7], v[2:3]
	v_fma_f64 v[6:7], v[13:14], v[4:5], v[6:7]
	v_fma_f64 v[13:14], -v[6:7], v[6:7], v[2:3]
	v_fma_f64 v[4:5], v[13:14], v[4:5], v[6:7]
	v_cndmask_b32_e64 v6, 0, 0xffffff80, vcc_lo
	v_cmp_class_f64_e64 vcc_lo, v[2:3], 0x260
	v_ldexp_f64 v[5:6], v[4:5], v6
	v_mov_b32_e32 v4, 0
	v_cndmask_b32_e32 v3, v6, v3, vcc_lo
	v_cndmask_b32_e32 v2, v5, v2, vcc_lo
	v_mov_b32_e32 v5, v4
	global_store_dwordx4 v[0:1], v[2:5], off
	s_and_b32 exec_lo, exec_lo, s1
	s_cbranch_execz .LBB49_52
; %bb.48:
	s_mov_b32 s2, exec_lo
	s_brev_b32 s1, -2
.LBB49_49:                              ; =>This Inner Loop Header: Depth=1
	s_ff1_i32_b32 s4, s2
	v_readlane_b32 s5, v12, s4
	s_lshl_b32 s4, 1, s4
	s_andn2_b32 s2, s2, s4
	s_min_i32 s1, s1, s5
	s_cmp_lg_u32 s2, 0
	s_cbranch_scc1 .LBB49_49
; %bb.50:
	v_mbcnt_lo_u32_b32 v0, exec_lo, 0
	s_mov_b32 s2, exec_lo
	v_cmpx_eq_u32_e32 0, v0
	s_xor_b32 s2, exec_lo, s2
	s_cbranch_execz .LBB49_52
; %bb.51:
	v_mov_b32_e32 v0, 0
	v_mov_b32_e32 v1, s1
	global_atomic_smin v0, v1, s[12:13]
.LBB49_52:
	s_or_b32 exec_lo, exec_lo, s3
	s_and_b32 exec_lo, exec_lo, s0
	s_cbranch_execz .LBB49_54
; %bb.53:
	v_add_co_u32 v0, vcc_lo, s8, v8
	v_add_co_ci_u32_e64 v1, null, s9, v9, vcc_lo
	v_mov_b32_e32 v2, 1
	s_waitcnt lgkmcnt(0)
	s_waitcnt_vscnt null, 0x0
	global_store_dword v[0:1], v2, off
.LBB49_54:
	s_endpgm
	.section	.rodata,"a",@progbits
	.p2align	6, 0x0
	.amdhsa_kernel _ZN9rocsparseL18csric0_hash_kernelILj256ELj64ELj8E21rocsparse_complex_numIdEEEviPKiS4_PT2_S4_PiS4_S7_S7_d21rocsparse_index_base_
		.amdhsa_group_segment_fixed_size 16384
		.amdhsa_private_segment_fixed_size 0
		.amdhsa_kernarg_size 84
		.amdhsa_user_sgpr_count 6
		.amdhsa_user_sgpr_private_segment_buffer 1
		.amdhsa_user_sgpr_dispatch_ptr 0
		.amdhsa_user_sgpr_queue_ptr 0
		.amdhsa_user_sgpr_kernarg_segment_ptr 1
		.amdhsa_user_sgpr_dispatch_id 0
		.amdhsa_user_sgpr_flat_scratch_init 0
		.amdhsa_user_sgpr_private_segment_size 0
		.amdhsa_wavefront_size32 1
		.amdhsa_uses_dynamic_stack 0
		.amdhsa_system_sgpr_private_segment_wavefront_offset 0
		.amdhsa_system_sgpr_workgroup_id_x 1
		.amdhsa_system_sgpr_workgroup_id_y 0
		.amdhsa_system_sgpr_workgroup_id_z 0
		.amdhsa_system_sgpr_workgroup_info 0
		.amdhsa_system_vgpr_workitem_id 0
		.amdhsa_next_free_vgpr 50
		.amdhsa_next_free_sgpr 30
		.amdhsa_reserve_vcc 1
		.amdhsa_reserve_flat_scratch 0
		.amdhsa_float_round_mode_32 0
		.amdhsa_float_round_mode_16_64 0
		.amdhsa_float_denorm_mode_32 3
		.amdhsa_float_denorm_mode_16_64 3
		.amdhsa_dx10_clamp 1
		.amdhsa_ieee_mode 1
		.amdhsa_fp16_overflow 0
		.amdhsa_workgroup_processor_mode 1
		.amdhsa_memory_ordered 1
		.amdhsa_forward_progress 1
		.amdhsa_shared_vgpr_count 0
		.amdhsa_exception_fp_ieee_invalid_op 0
		.amdhsa_exception_fp_denorm_src 0
		.amdhsa_exception_fp_ieee_div_zero 0
		.amdhsa_exception_fp_ieee_overflow 0
		.amdhsa_exception_fp_ieee_underflow 0
		.amdhsa_exception_fp_ieee_inexact 0
		.amdhsa_exception_int_div_zero 0
	.end_amdhsa_kernel
	.section	.text._ZN9rocsparseL18csric0_hash_kernelILj256ELj64ELj8E21rocsparse_complex_numIdEEEviPKiS4_PT2_S4_PiS4_S7_S7_d21rocsparse_index_base_,"axG",@progbits,_ZN9rocsparseL18csric0_hash_kernelILj256ELj64ELj8E21rocsparse_complex_numIdEEEviPKiS4_PT2_S4_PiS4_S7_S7_d21rocsparse_index_base_,comdat
.Lfunc_end49:
	.size	_ZN9rocsparseL18csric0_hash_kernelILj256ELj64ELj8E21rocsparse_complex_numIdEEEviPKiS4_PT2_S4_PiS4_S7_S7_d21rocsparse_index_base_, .Lfunc_end49-_ZN9rocsparseL18csric0_hash_kernelILj256ELj64ELj8E21rocsparse_complex_numIdEEEviPKiS4_PT2_S4_PiS4_S7_S7_d21rocsparse_index_base_
                                        ; -- End function
	.set _ZN9rocsparseL18csric0_hash_kernelILj256ELj64ELj8E21rocsparse_complex_numIdEEEviPKiS4_PT2_S4_PiS4_S7_S7_d21rocsparse_index_base_.num_vgpr, 50
	.set _ZN9rocsparseL18csric0_hash_kernelILj256ELj64ELj8E21rocsparse_complex_numIdEEEviPKiS4_PT2_S4_PiS4_S7_S7_d21rocsparse_index_base_.num_agpr, 0
	.set _ZN9rocsparseL18csric0_hash_kernelILj256ELj64ELj8E21rocsparse_complex_numIdEEEviPKiS4_PT2_S4_PiS4_S7_S7_d21rocsparse_index_base_.numbered_sgpr, 30
	.set _ZN9rocsparseL18csric0_hash_kernelILj256ELj64ELj8E21rocsparse_complex_numIdEEEviPKiS4_PT2_S4_PiS4_S7_S7_d21rocsparse_index_base_.num_named_barrier, 0
	.set _ZN9rocsparseL18csric0_hash_kernelILj256ELj64ELj8E21rocsparse_complex_numIdEEEviPKiS4_PT2_S4_PiS4_S7_S7_d21rocsparse_index_base_.private_seg_size, 0
	.set _ZN9rocsparseL18csric0_hash_kernelILj256ELj64ELj8E21rocsparse_complex_numIdEEEviPKiS4_PT2_S4_PiS4_S7_S7_d21rocsparse_index_base_.uses_vcc, 1
	.set _ZN9rocsparseL18csric0_hash_kernelILj256ELj64ELj8E21rocsparse_complex_numIdEEEviPKiS4_PT2_S4_PiS4_S7_S7_d21rocsparse_index_base_.uses_flat_scratch, 0
	.set _ZN9rocsparseL18csric0_hash_kernelILj256ELj64ELj8E21rocsparse_complex_numIdEEEviPKiS4_PT2_S4_PiS4_S7_S7_d21rocsparse_index_base_.has_dyn_sized_stack, 0
	.set _ZN9rocsparseL18csric0_hash_kernelILj256ELj64ELj8E21rocsparse_complex_numIdEEEviPKiS4_PT2_S4_PiS4_S7_S7_d21rocsparse_index_base_.has_recursion, 0
	.set _ZN9rocsparseL18csric0_hash_kernelILj256ELj64ELj8E21rocsparse_complex_numIdEEEviPKiS4_PT2_S4_PiS4_S7_S7_d21rocsparse_index_base_.has_indirect_call, 0
	.section	.AMDGPU.csdata,"",@progbits
; Kernel info:
; codeLenInByte = 3300
; TotalNumSgprs: 32
; NumVgprs: 50
; ScratchSize: 0
; MemoryBound: 0
; FloatMode: 240
; IeeeMode: 1
; LDSByteSize: 16384 bytes/workgroup (compile time only)
; SGPRBlocks: 0
; VGPRBlocks: 6
; NumSGPRsForWavesPerEU: 32
; NumVGPRsForWavesPerEU: 50
; Occupancy: 16
; WaveLimiterHint : 1
; COMPUTE_PGM_RSRC2:SCRATCH_EN: 0
; COMPUTE_PGM_RSRC2:USER_SGPR: 6
; COMPUTE_PGM_RSRC2:TRAP_HANDLER: 0
; COMPUTE_PGM_RSRC2:TGID_X_EN: 1
; COMPUTE_PGM_RSRC2:TGID_Y_EN: 0
; COMPUTE_PGM_RSRC2:TGID_Z_EN: 0
; COMPUTE_PGM_RSRC2:TIDIG_COMP_CNT: 0
	.section	.text._ZN9rocsparseL18csric0_hash_kernelILj256ELj64ELj16E21rocsparse_complex_numIdEEEviPKiS4_PT2_S4_PiS4_S7_S7_d21rocsparse_index_base_,"axG",@progbits,_ZN9rocsparseL18csric0_hash_kernelILj256ELj64ELj16E21rocsparse_complex_numIdEEEviPKiS4_PT2_S4_PiS4_S7_S7_d21rocsparse_index_base_,comdat
	.globl	_ZN9rocsparseL18csric0_hash_kernelILj256ELj64ELj16E21rocsparse_complex_numIdEEEviPKiS4_PT2_S4_PiS4_S7_S7_d21rocsparse_index_base_ ; -- Begin function _ZN9rocsparseL18csric0_hash_kernelILj256ELj64ELj16E21rocsparse_complex_numIdEEEviPKiS4_PT2_S4_PiS4_S7_S7_d21rocsparse_index_base_
	.p2align	8
	.type	_ZN9rocsparseL18csric0_hash_kernelILj256ELj64ELj16E21rocsparse_complex_numIdEEEviPKiS4_PT2_S4_PiS4_S7_S7_d21rocsparse_index_base_,@function
_ZN9rocsparseL18csric0_hash_kernelILj256ELj64ELj16E21rocsparse_complex_numIdEEEviPKiS4_PT2_S4_PiS4_S7_S7_d21rocsparse_index_base_: ; @_ZN9rocsparseL18csric0_hash_kernelILj256ELj64ELj16E21rocsparse_complex_numIdEEEviPKiS4_PT2_S4_PiS4_S7_S7_d21rocsparse_index_base_
; %bb.0:
	s_clause 0x1
	s_load_dwordx8 s[16:23], s[4:5], 0x8
	s_load_dwordx8 s[8:15], s[4:5], 0x28
	v_lshrrev_b32_e32 v1, 6, v0
	v_and_b32_e32 v28, 63, v0
	s_mov_b32 s0, 0
	v_lshlrev_b32_e32 v3, 12, v1
	v_lshlrev_b32_e32 v4, 2, v28
	v_or_b32_e32 v2, 0xffffffc0, v28
	v_or3_b32 v3, v3, v4, 0x4000
	v_mov_b32_e32 v4, -1
.LBB50_1:                               ; =>This Inner Loop Header: Depth=1
	v_add_nc_u32_e32 v2, 64, v2
	ds_write_b32 v3, v4
	v_add_nc_u32_e32 v3, 0x100, v3
	v_cmp_lt_u32_e32 vcc_lo, 0x3bf, v2
	s_or_b32 s0, vcc_lo, s0
	s_andn2_b32 exec_lo, exec_lo, s0
	s_cbranch_execnz .LBB50_1
; %bb.2:
	s_or_b32 exec_lo, exec_lo, s0
	s_load_dword s0, s[4:5], 0x0
	s_lshl_b32 s1, s6, 2
	s_waitcnt lgkmcnt(0)
	buffer_gl0_inv
	v_and_or_b32 v1, 0x3fffffc, s1, v1
	v_cmp_gt_i32_e32 vcc_lo, s0, v1
	s_and_saveexec_b32 s0, vcc_lo
	s_cbranch_execz .LBB50_54
; %bb.3:
	v_lshlrev_b32_e32 v1, 2, v1
	s_load_dword s2, s[4:5], 0x50
	v_lshlrev_b32_e32 v0, 6, v0
	s_mov_b32 s0, exec_lo
	global_load_dword v10, v1, s[10:11]
	v_and_b32_e32 v29, 0x3000, v0
	v_or_b32_e32 v30, 0x4000, v29
	s_waitcnt vmcnt(0)
	v_ashrrev_i32_e32 v11, 31, v10
	v_lshlrev_b64 v[8:9], 2, v[10:11]
	v_add_co_u32 v1, vcc_lo, s16, v8
	v_add_co_ci_u32_e64 v2, null, s17, v9, vcc_lo
	v_add_co_u32 v3, vcc_lo, s22, v8
	v_add_co_ci_u32_e64 v4, null, s23, v9, vcc_lo
	global_load_dwordx2 v[1:2], v[1:2], off
	global_load_dword v11, v[3:4], off
	s_waitcnt vmcnt(1) lgkmcnt(0)
	v_subrev_nc_u32_e32 v12, s2, v1
	v_subrev_nc_u32_e32 v2, s2, v2
	v_add_nc_u32_e32 v0, v12, v28
	v_cmpx_lt_i32_e64 v0, v2
	s_cbranch_execz .LBB50_13
; %bb.4:
	v_mov_b32_e32 v3, -1
	s_mov_b32 s1, 0
	s_branch .LBB50_6
.LBB50_5:                               ;   in Loop: Header=BB50_6 Depth=1
	s_or_b32 exec_lo, exec_lo, s3
	v_add_nc_u32_e32 v0, 64, v0
	v_cmp_ge_i32_e32 vcc_lo, v0, v2
	s_or_b32 s1, vcc_lo, s1
	s_andn2_b32 exec_lo, exec_lo, s1
	s_cbranch_execz .LBB50_13
.LBB50_6:                               ; =>This Loop Header: Depth=1
                                        ;     Child Loop BB50_9 Depth 2
	v_ashrrev_i32_e32 v1, 31, v0
	s_mov_b32 s3, exec_lo
	v_lshlrev_b64 v[4:5], 2, v[0:1]
	v_add_co_u32 v4, vcc_lo, s18, v4
	v_add_co_ci_u32_e64 v5, null, s19, v5, vcc_lo
	global_load_dword v1, v[4:5], off
	s_waitcnt vmcnt(0)
	v_mul_lo_u32 v4, 0x67, v1
	v_and_b32_e32 v4, 0x3ff, v4
	v_lshl_add_u32 v5, v4, 2, v30
	ds_read_b32 v6, v5
	s_waitcnt lgkmcnt(0)
	v_cmpx_ne_u32_e64 v6, v1
	s_cbranch_execz .LBB50_5
; %bb.7:                                ;   in Loop: Header=BB50_6 Depth=1
	s_mov_b32 s6, 0
                                        ; implicit-def: $sgpr7
                                        ; implicit-def: $sgpr11
                                        ; implicit-def: $sgpr10
	s_inst_prefetch 0x1
	s_branch .LBB50_9
	.p2align	6
.LBB50_8:                               ;   in Loop: Header=BB50_9 Depth=2
	s_or_b32 exec_lo, exec_lo, s24
	s_and_b32 s24, exec_lo, s11
	s_or_b32 s6, s24, s6
	s_andn2_b32 s7, s7, exec_lo
	s_and_b32 s24, s10, exec_lo
	s_or_b32 s7, s7, s24
	s_andn2_b32 exec_lo, exec_lo, s6
	s_cbranch_execz .LBB50_11
.LBB50_9:                               ;   Parent Loop BB50_6 Depth=1
                                        ; =>  This Inner Loop Header: Depth=2
	ds_cmpst_rtn_b32 v5, v5, v3, v1
	v_mov_b32_e32 v6, v4
	s_or_b32 s10, s10, exec_lo
	s_or_b32 s11, s11, exec_lo
                                        ; implicit-def: $vgpr4
	s_waitcnt lgkmcnt(0)
	v_cmp_ne_u32_e32 vcc_lo, -1, v5
                                        ; implicit-def: $vgpr5
	s_and_saveexec_b32 s24, vcc_lo
	s_cbranch_execz .LBB50_8
; %bb.10:                               ;   in Loop: Header=BB50_9 Depth=2
	v_add_nc_u32_e32 v4, 1, v6
	s_andn2_b32 s11, s11, exec_lo
	s_andn2_b32 s10, s10, exec_lo
	v_and_b32_e32 v4, 0x3ff, v4
	v_lshl_add_u32 v5, v4, 2, v30
	ds_read_b32 v7, v5
	s_waitcnt lgkmcnt(0)
	v_cmp_eq_u32_e32 vcc_lo, v7, v1
	s_and_b32 s25, vcc_lo, exec_lo
	s_or_b32 s11, s11, s25
	s_branch .LBB50_8
.LBB50_11:                              ;   in Loop: Header=BB50_6 Depth=1
	s_inst_prefetch 0x2
	s_or_b32 exec_lo, exec_lo, s6
	s_and_saveexec_b32 s6, s7
	s_xor_b32 s6, exec_lo, s6
	s_cbranch_execz .LBB50_5
; %bb.12:                               ;   in Loop: Header=BB50_6 Depth=1
	v_lshl_add_u32 v1, v6, 2, v29
	ds_write_b32 v1, v0
	s_branch .LBB50_5
.LBB50_13:
	s_or_b32 exec_lo, exec_lo, s0
	v_mov_b32_e32 v14, 0
	v_mov_b32_e32 v16, 0
	;; [unrolled: 1-line block ×4, first 2 shown]
	s_mov_b32 s3, exec_lo
	s_waitcnt vmcnt(0) lgkmcnt(0)
	buffer_gl0_inv
	v_cmpx_lt_i32_e64 v12, v11
	s_cbranch_execz .LBB50_35
; %bb.14:
	v_mbcnt_lo_u32_b32 v31, -1, 0
	v_mov_b32_e32 v14, 0
	v_mov_b32_e32 v16, 0
	v_add_nc_u32_e32 v32, -1, v11
	v_subrev_nc_u32_e32 v33, s2, v28
	v_cmp_eq_u32_e64 s0, 63, v28
	v_mov_b32_e32 v15, 0
	v_or_b32_e32 v34, 32, v31
	v_xor_b32_e32 v35, 16, v31
	v_xor_b32_e32 v36, 8, v31
	;; [unrolled: 1-line block ×4, first 2 shown]
	v_mov_b32_e32 v17, 0
	v_xor_b32_e32 v39, 1, v31
	s_mov_b32 s6, 0
	s_branch .LBB50_17
.LBB50_15:                              ;   in Loop: Header=BB50_17 Depth=1
	s_or_b32 exec_lo, exec_lo, s7
	v_add_nc_u32_e32 v12, 1, v12
	v_cmp_ge_i32_e32 vcc_lo, v12, v11
	s_orn2_b32 s7, vcc_lo, exec_lo
.LBB50_16:                              ;   in Loop: Header=BB50_17 Depth=1
	s_or_b32 exec_lo, exec_lo, s1
	s_and_b32 s1, exec_lo, s7
	s_or_b32 s6, s1, s6
	s_andn2_b32 exec_lo, exec_lo, s6
	s_cbranch_execz .LBB50_34
.LBB50_17:                              ; =>This Loop Header: Depth=1
                                        ;     Child Loop BB50_18 Depth 2
                                        ;     Child Loop BB50_24 Depth 2
                                        ;       Child Loop BB50_27 Depth 3
	v_ashrrev_i32_e32 v13, 31, v12
	s_mov_b32 s1, 0
	v_lshlrev_b64 v[0:1], 2, v[12:13]
	v_lshlrev_b64 v[2:3], 4, v[12:13]
	v_add_co_u32 v0, vcc_lo, s18, v0
	v_add_co_ci_u32_e64 v1, null, s19, v1, vcc_lo
	v_add_co_u32 v18, vcc_lo, s20, v2
	v_add_co_ci_u32_e64 v19, null, s21, v3, vcc_lo
	global_load_dword v0, v[0:1], off
	s_waitcnt vmcnt(0)
	v_subrev_nc_u32_e32 v0, s2, v0
	v_ashrrev_i32_e32 v1, 31, v0
	v_lshlrev_b64 v[4:5], 2, v[0:1]
	v_add_co_u32 v6, vcc_lo, s16, v4
	v_add_co_ci_u32_e64 v7, null, s17, v5, vcc_lo
	v_add_co_u32 v20, vcc_lo, s22, v4
	v_add_co_ci_u32_e64 v21, null, s23, v5, vcc_lo
	global_load_dwordx4 v[0:3], v[18:19], off
	global_load_dword v13, v[6:7], off
	global_load_dword v6, v[20:21], off
	v_add_co_u32 v4, vcc_lo, s8, v4
	v_add_co_ci_u32_e64 v5, null, s9, v5, vcc_lo
.LBB50_18:                              ;   Parent Loop BB50_17 Depth=1
                                        ; =>  This Inner Loop Header: Depth=2
	global_load_dword v7, v[4:5], off glc dlc
	s_waitcnt vmcnt(0)
	v_cmp_ne_u32_e32 vcc_lo, 0, v7
	s_or_b32 s1, vcc_lo, s1
	s_andn2_b32 exec_lo, exec_lo, s1
	s_cbranch_execnz .LBB50_18
; %bb.19:                               ;   in Loop: Header=BB50_17 Depth=1
	s_or_b32 exec_lo, exec_lo, s1
	v_cmp_eq_u32_e32 vcc_lo, -1, v6
	buffer_gl1_inv
	buffer_gl0_inv
	s_mov_b32 s7, -1
	s_waitcnt lgkmcnt(3)
	v_cndmask_b32_e32 v24, v6, v32, vcc_lo
	s_waitcnt lgkmcnt(2)
	v_ashrrev_i32_e32 v25, 31, v24
	v_lshlrev_b64 v[4:5], 4, v[24:25]
	v_add_co_u32 v4, vcc_lo, s20, v4
	v_add_co_ci_u32_e64 v5, null, s21, v5, vcc_lo
	global_load_dwordx4 v[4:7], v[4:5], off
	s_waitcnt vmcnt(0)
	v_cmp_neq_f64_e32 vcc_lo, 0, v[4:5]
	v_cmp_neq_f64_e64 s1, 0, v[6:7]
	s_or_b32 s10, vcc_lo, s1
	s_and_saveexec_b32 s1, s10
	s_cbranch_execz .LBB50_16
; %bb.20:                               ;   in Loop: Header=BB50_17 Depth=1
	v_mov_b32_e32 v20, 0
	v_mov_b32_e32 v22, 0
	v_add_nc_u32_e32 v25, v33, v13
	v_mov_b32_e32 v21, 0
	v_mov_b32_e32 v23, 0
	s_mov_b32 s7, exec_lo
	v_cmpx_lt_i32_e64 v25, v24
	s_cbranch_execz .LBB50_32
; %bb.21:                               ;   in Loop: Header=BB50_17 Depth=1
	v_mov_b32_e32 v20, 0
	v_mov_b32_e32 v22, 0
	;; [unrolled: 1-line block ×4, first 2 shown]
	s_mov_b32 s10, 0
	s_branch .LBB50_24
.LBB50_22:                              ;   in Loop: Header=BB50_24 Depth=2
	s_or_b32 exec_lo, exec_lo, s24
.LBB50_23:                              ;   in Loop: Header=BB50_24 Depth=2
	s_or_b32 exec_lo, exec_lo, s11
	v_add_nc_u32_e32 v25, 64, v25
	v_cmp_ge_i32_e32 vcc_lo, v25, v24
	s_or_b32 s10, vcc_lo, s10
	s_andn2_b32 exec_lo, exec_lo, s10
	s_cbranch_execz .LBB50_31
.LBB50_24:                              ;   Parent Loop BB50_17 Depth=1
                                        ; =>  This Loop Header: Depth=2
                                        ;       Child Loop BB50_27 Depth 3
	s_waitcnt lgkmcnt(1)
	v_ashrrev_i32_e32 v26, 31, v25
	s_mov_b32 s11, exec_lo
	v_lshlrev_b64 v[40:41], 2, v[25:26]
	v_add_co_u32 v40, vcc_lo, s18, v40
	v_add_co_ci_u32_e64 v41, null, s19, v41, vcc_lo
	global_load_dword v13, v[40:41], off
	s_waitcnt vmcnt(0) lgkmcnt(0)
	v_mul_lo_u32 v27, 0x67, v13
	v_and_b32_e32 v41, 0x3ff, v27
	v_lshl_add_u32 v27, v41, 2, v30
	ds_read_b32 v40, v27
	s_waitcnt lgkmcnt(0)
	v_cmpx_ne_u32_e32 -1, v40
	s_cbranch_execz .LBB50_23
; %bb.25:                               ;   in Loop: Header=BB50_24 Depth=2
	s_mov_b32 s25, 0
                                        ; implicit-def: $sgpr24
                                        ; implicit-def: $sgpr27
                                        ; implicit-def: $sgpr26
	s_inst_prefetch 0x1
	s_branch .LBB50_27
	.p2align	6
.LBB50_26:                              ;   in Loop: Header=BB50_27 Depth=3
	s_or_b32 exec_lo, exec_lo, s28
	s_and_b32 s28, exec_lo, s27
	s_or_b32 s25, s28, s25
	s_andn2_b32 s24, s24, exec_lo
	s_and_b32 s28, s26, exec_lo
	s_or_b32 s24, s24, s28
	s_andn2_b32 exec_lo, exec_lo, s25
	s_cbranch_execz .LBB50_29
.LBB50_27:                              ;   Parent Loop BB50_17 Depth=1
                                        ;     Parent Loop BB50_24 Depth=2
                                        ; =>    This Inner Loop Header: Depth=3
	v_mov_b32_e32 v27, v41
	v_cmp_ne_u32_e32 vcc_lo, v40, v13
	s_or_b32 s26, s26, exec_lo
	s_or_b32 s27, s27, exec_lo
                                        ; implicit-def: $vgpr41
                                        ; implicit-def: $vgpr40
	s_and_saveexec_b32 s28, vcc_lo
	s_cbranch_execz .LBB50_26
; %bb.28:                               ;   in Loop: Header=BB50_27 Depth=3
	v_add_nc_u32_e32 v40, 1, v27
	s_andn2_b32 s27, s27, exec_lo
	s_andn2_b32 s26, s26, exec_lo
	v_and_b32_e32 v41, 0x3ff, v40
	v_lshl_add_u32 v40, v41, 2, v30
	ds_read_b32 v40, v40
	s_waitcnt lgkmcnt(0)
	v_cmp_eq_u32_e32 vcc_lo, -1, v40
	s_and_b32 s29, vcc_lo, exec_lo
	s_or_b32 s27, s27, s29
	s_branch .LBB50_26
.LBB50_29:                              ;   in Loop: Header=BB50_24 Depth=2
	s_inst_prefetch 0x2
	s_or_b32 exec_lo, exec_lo, s25
	s_and_saveexec_b32 s25, s24
	s_xor_b32 s24, exec_lo, s25
	s_cbranch_execz .LBB50_22
; %bb.30:                               ;   in Loop: Header=BB50_24 Depth=2
	v_lshl_add_u32 v13, v27, 2, v29
	v_lshlrev_b64 v[26:27], 4, v[25:26]
	ds_read_b32 v40, v13
	v_add_co_u32 v26, vcc_lo, s20, v26
	v_add_co_ci_u32_e64 v27, null, s21, v27, vcc_lo
	s_waitcnt lgkmcnt(0)
	v_ashrrev_i32_e32 v41, 31, v40
	v_lshlrev_b64 v[40:41], 4, v[40:41]
	v_add_co_u32 v44, vcc_lo, s20, v40
	v_add_co_ci_u32_e64 v45, null, s21, v41, vcc_lo
	s_clause 0x1
	global_load_dwordx4 v[40:43], v[26:27], off
	global_load_dwordx4 v[44:47], v[44:45], off
	s_waitcnt vmcnt(0)
	v_fma_f64 v[22:23], v[40:41], v[44:45], v[22:23]
	v_fma_f64 v[20:21], v[42:43], v[44:45], v[20:21]
	;; [unrolled: 1-line block ×3, first 2 shown]
	v_fma_f64 v[20:21], v[40:41], -v[46:47], v[20:21]
	s_branch .LBB50_22
.LBB50_31:                              ;   in Loop: Header=BB50_17 Depth=1
	s_or_b32 exec_lo, exec_lo, s10
.LBB50_32:                              ;   in Loop: Header=BB50_17 Depth=1
	s_or_b32 exec_lo, exec_lo, s7
	v_cmp_gt_i32_e32 vcc_lo, 32, v34
	v_cndmask_b32_e32 v13, v31, v34, vcc_lo
	v_cmp_gt_i32_e32 vcc_lo, 32, v35
	v_lshlrev_b32_e32 v13, 2, v13
	ds_bpermute_b32 v24, v13, v22
	ds_bpermute_b32 v25, v13, v23
	s_waitcnt lgkmcnt(3)
	ds_bpermute_b32 v26, v13, v20
	s_waitcnt lgkmcnt(3)
	ds_bpermute_b32 v27, v13, v21
	v_cndmask_b32_e32 v13, v31, v35, vcc_lo
	v_cmp_gt_i32_e32 vcc_lo, 32, v36
	v_lshlrev_b32_e32 v13, 2, v13
	s_waitcnt lgkmcnt(2)
	v_add_f64 v[22:23], v[22:23], v[24:25]
	s_waitcnt lgkmcnt(0)
	v_add_f64 v[20:21], v[20:21], v[26:27]
	ds_bpermute_b32 v24, v13, v22
	ds_bpermute_b32 v25, v13, v23
	ds_bpermute_b32 v26, v13, v20
	ds_bpermute_b32 v27, v13, v21
	v_cndmask_b32_e32 v13, v31, v36, vcc_lo
	v_cmp_gt_i32_e32 vcc_lo, 32, v37
	v_lshlrev_b32_e32 v13, 2, v13
	s_waitcnt lgkmcnt(2)
	v_add_f64 v[22:23], v[22:23], v[24:25]
	s_waitcnt lgkmcnt(0)
	v_add_f64 v[20:21], v[20:21], v[26:27]
	ds_bpermute_b32 v24, v13, v22
	ds_bpermute_b32 v25, v13, v23
	ds_bpermute_b32 v26, v13, v20
	;; [unrolled: 11-line block ×4, first 2 shown]
	ds_bpermute_b32 v27, v13, v25
	v_cndmask_b32_e32 v13, v31, v39, vcc_lo
	v_lshlrev_b32_e32 v13, 2, v13
	s_waitcnt lgkmcnt(2)
	v_add_f64 v[20:21], v[22:23], v[20:21]
	s_waitcnt lgkmcnt(0)
	v_add_f64 v[22:23], v[24:25], v[26:27]
	ds_bpermute_b32 v24, v13, v20
	ds_bpermute_b32 v25, v13, v21
	;; [unrolled: 1-line block ×4, first 2 shown]
	s_and_saveexec_b32 s7, s0
	s_cbranch_execz .LBB50_15
; %bb.33:                               ;   in Loop: Header=BB50_17 Depth=1
	v_mul_f64 v[40:41], v[6:7], v[6:7]
	s_waitcnt lgkmcnt(0)
	v_add_f64 v[22:23], v[22:23], v[26:27]
	v_add_f64 v[20:21], v[20:21], v[24:25]
	v_fma_f64 v[40:41], v[4:5], v[4:5], v[40:41]
	v_add_f64 v[2:3], v[2:3], -v[22:23]
	v_add_f64 v[0:1], v[0:1], -v[20:21]
	v_div_scale_f64 v[42:43], null, v[40:41], v[40:41], 1.0
	v_div_scale_f64 v[48:49], vcc_lo, 1.0, v[40:41], 1.0
	v_rcp_f64_e32 v[44:45], v[42:43]
	v_fma_f64 v[46:47], -v[42:43], v[44:45], 1.0
	v_fma_f64 v[44:45], v[44:45], v[46:47], v[44:45]
	v_fma_f64 v[46:47], -v[42:43], v[44:45], 1.0
	v_fma_f64 v[44:45], v[44:45], v[46:47], v[44:45]
	v_mul_f64 v[46:47], v[48:49], v[44:45]
	v_fma_f64 v[42:43], -v[42:43], v[46:47], v[48:49]
	v_div_fmas_f64 v[42:43], v[42:43], v[44:45], v[46:47]
	v_fma_f64 v[44:45], v[4:5], 0, -v[6:7]
	v_fma_f64 v[4:5], v[6:7], 0, v[4:5]
	v_div_fixup_f64 v[26:27], v[42:43], v[40:41], 1.0
	v_mul_f64 v[6:7], v[44:45], v[26:27]
	v_mul_f64 v[4:5], v[4:5], v[26:27]
	v_mul_f64 v[20:21], v[6:7], -v[2:3]
	v_mul_f64 v[6:7], v[6:7], v[0:1]
	v_fma_f64 v[0:1], v[0:1], v[4:5], v[20:21]
	v_fma_f64 v[2:3], v[2:3], v[4:5], v[6:7]
	v_fma_f64 v[4:5], v[0:1], v[0:1], v[16:17]
	v_fma_f64 v[6:7], v[2:3], v[0:1], v[14:15]
	global_store_dwordx4 v[18:19], v[0:3], off
	v_fma_f64 v[16:17], v[2:3], v[2:3], v[4:5]
	v_fma_f64 v[14:15], v[0:1], -v[2:3], v[6:7]
	s_branch .LBB50_15
.LBB50_34:
	s_or_b32 exec_lo, exec_lo, s6
.LBB50_35:
	s_or_b32 exec_lo, exec_lo, s3
	v_cmp_eq_u32_e64 s0, 63, v28
	v_cmp_lt_i32_e32 vcc_lo, -1, v11
	s_and_b32 s1, s0, vcc_lo
	s_and_saveexec_b32 s3, s1
	s_cbranch_execz .LBB50_52
; %bb.36:
	v_mov_b32_e32 v12, 0
	s_load_dwordx2 s[4:5], s[4:5], 0x48
	v_lshlrev_b64 v[0:1], 4, v[11:12]
	v_add_co_u32 v0, vcc_lo, s20, v0
	v_add_co_ci_u32_e64 v1, null, s21, v1, vcc_lo
	global_load_dwordx4 v[2:5], v[0:1], off
	s_waitcnt lgkmcnt(0)
	v_mul_f64 v[11:12], s[4:5], s[4:5]
	s_waitcnt vmcnt(0)
	v_add_f64 v[2:3], v[2:3], -v[16:17]
	v_add_f64 v[6:7], v[4:5], -v[14:15]
	v_cmp_le_f64_e32 vcc_lo, v[2:3], v[11:12]
	v_cmp_eq_f64_e64 s1, 0, v[6:7]
	v_add_nc_u32_e32 v12, s2, v10
	s_and_b32 s2, vcc_lo, s1
	s_and_saveexec_b32 s1, s2
	s_cbranch_execz .LBB50_41
; %bb.37:
	s_mov_b32 s4, exec_lo
	s_brev_b32 s2, -2
.LBB50_38:                              ; =>This Inner Loop Header: Depth=1
	s_ff1_i32_b32 s5, s4
	v_readlane_b32 s6, v12, s5
	s_lshl_b32 s5, 1, s5
	s_andn2_b32 s4, s4, s5
	s_min_i32 s2, s2, s6
	s_cmp_lg_u32 s4, 0
	s_cbranch_scc1 .LBB50_38
; %bb.39:
	v_mbcnt_lo_u32_b32 v4, exec_lo, 0
	s_mov_b32 s4, exec_lo
	v_cmpx_eq_u32_e32 0, v4
	s_xor_b32 s4, exec_lo, s4
	s_cbranch_execz .LBB50_41
; %bb.40:
	v_mov_b32_e32 v4, 0
	v_mov_b32_e32 v5, s2
	global_atomic_smin v4, v5, s[14:15]
.LBB50_41:
	s_or_b32 exec_lo, exec_lo, s1
	v_cmp_gt_f64_e32 vcc_lo, 0, v[2:3]
	v_xor_b32_e32 v4, 0x80000000, v3
	v_xor_b32_e32 v5, 0x80000000, v7
	s_mov_b32 s1, exec_lo
                                        ; implicit-def: $vgpr10_vgpr11
	v_cndmask_b32_e32 v3, v3, v4, vcc_lo
	v_cmp_gt_f64_e32 vcc_lo, 0, v[6:7]
	v_mov_b32_e32 v4, v6
	v_cndmask_b32_e32 v5, v7, v5, vcc_lo
	v_cmpx_ngt_f64_e32 v[2:3], v[4:5]
	s_xor_b32 s1, exec_lo, s1
	s_cbranch_execz .LBB50_45
; %bb.42:
	v_mov_b32_e32 v10, 0
	v_mov_b32_e32 v11, 0
	s_mov_b32 s2, exec_lo
	v_cmpx_neq_f64_e32 0, v[6:7]
	s_cbranch_execz .LBB50_44
; %bb.43:
	v_div_scale_f64 v[6:7], null, v[4:5], v[4:5], v[2:3]
	v_div_scale_f64 v[15:16], vcc_lo, v[2:3], v[4:5], v[2:3]
	v_rcp_f64_e32 v[10:11], v[6:7]
	v_fma_f64 v[13:14], -v[6:7], v[10:11], 1.0
	v_fma_f64 v[10:11], v[10:11], v[13:14], v[10:11]
	v_fma_f64 v[13:14], -v[6:7], v[10:11], 1.0
	v_fma_f64 v[10:11], v[10:11], v[13:14], v[10:11]
	v_mul_f64 v[13:14], v[15:16], v[10:11]
	v_fma_f64 v[6:7], -v[6:7], v[13:14], v[15:16]
	v_div_fmas_f64 v[6:7], v[6:7], v[10:11], v[13:14]
	v_div_fixup_f64 v[2:3], v[6:7], v[4:5], v[2:3]
	v_fma_f64 v[2:3], v[2:3], v[2:3], 1.0
	v_cmp_gt_f64_e32 vcc_lo, 0x10000000, v[2:3]
	v_cndmask_b32_e64 v6, 0, 0x100, vcc_lo
	v_ldexp_f64 v[2:3], v[2:3], v6
	v_rsq_f64_e32 v[6:7], v[2:3]
	v_mul_f64 v[10:11], v[2:3], v[6:7]
	v_mul_f64 v[6:7], v[6:7], 0.5
	v_fma_f64 v[13:14], -v[6:7], v[10:11], 0.5
	v_fma_f64 v[10:11], v[10:11], v[13:14], v[10:11]
	v_fma_f64 v[6:7], v[6:7], v[13:14], v[6:7]
	v_fma_f64 v[13:14], -v[10:11], v[10:11], v[2:3]
	v_fma_f64 v[10:11], v[13:14], v[6:7], v[10:11]
	v_fma_f64 v[13:14], -v[10:11], v[10:11], v[2:3]
	v_fma_f64 v[6:7], v[13:14], v[6:7], v[10:11]
	v_cndmask_b32_e64 v10, 0, 0xffffff80, vcc_lo
	v_cmp_class_f64_e64 vcc_lo, v[2:3], 0x260
	v_ldexp_f64 v[6:7], v[6:7], v10
	v_cndmask_b32_e32 v3, v7, v3, vcc_lo
	v_cndmask_b32_e32 v2, v6, v2, vcc_lo
	v_mul_f64 v[10:11], v[4:5], v[2:3]
.LBB50_44:
	s_or_b32 exec_lo, exec_lo, s2
                                        ; implicit-def: $vgpr2_vgpr3
                                        ; implicit-def: $vgpr4_vgpr5
.LBB50_45:
	s_andn2_saveexec_b32 s1, s1
	s_cbranch_execz .LBB50_47
; %bb.46:
	v_div_scale_f64 v[6:7], null, v[2:3], v[2:3], v[4:5]
	v_div_scale_f64 v[15:16], vcc_lo, v[4:5], v[2:3], v[4:5]
	v_rcp_f64_e32 v[10:11], v[6:7]
	v_fma_f64 v[13:14], -v[6:7], v[10:11], 1.0
	v_fma_f64 v[10:11], v[10:11], v[13:14], v[10:11]
	v_fma_f64 v[13:14], -v[6:7], v[10:11], 1.0
	v_fma_f64 v[10:11], v[10:11], v[13:14], v[10:11]
	v_mul_f64 v[13:14], v[15:16], v[10:11]
	v_fma_f64 v[6:7], -v[6:7], v[13:14], v[15:16]
	v_div_fmas_f64 v[6:7], v[6:7], v[10:11], v[13:14]
	v_div_fixup_f64 v[4:5], v[6:7], v[2:3], v[4:5]
	v_fma_f64 v[4:5], v[4:5], v[4:5], 1.0
	v_cmp_gt_f64_e32 vcc_lo, 0x10000000, v[4:5]
	v_cndmask_b32_e64 v6, 0, 0x100, vcc_lo
	v_ldexp_f64 v[4:5], v[4:5], v6
	v_rsq_f64_e32 v[6:7], v[4:5]
	v_mul_f64 v[10:11], v[4:5], v[6:7]
	v_mul_f64 v[6:7], v[6:7], 0.5
	v_fma_f64 v[13:14], -v[6:7], v[10:11], 0.5
	v_fma_f64 v[10:11], v[10:11], v[13:14], v[10:11]
	v_fma_f64 v[6:7], v[6:7], v[13:14], v[6:7]
	v_fma_f64 v[13:14], -v[10:11], v[10:11], v[4:5]
	v_fma_f64 v[10:11], v[13:14], v[6:7], v[10:11]
	v_fma_f64 v[13:14], -v[10:11], v[10:11], v[4:5]
	v_fma_f64 v[6:7], v[13:14], v[6:7], v[10:11]
	v_cndmask_b32_e64 v10, 0, 0xffffff80, vcc_lo
	v_cmp_class_f64_e64 vcc_lo, v[4:5], 0x260
	v_ldexp_f64 v[6:7], v[6:7], v10
	v_cndmask_b32_e32 v5, v7, v5, vcc_lo
	v_cndmask_b32_e32 v4, v6, v4, vcc_lo
	v_mul_f64 v[10:11], v[2:3], v[4:5]
.LBB50_47:
	s_or_b32 exec_lo, exec_lo, s1
	v_cmp_gt_f64_e32 vcc_lo, 0x10000000, v[10:11]
	v_cmp_eq_f64_e64 s1, 0, v[10:11]
	v_cndmask_b32_e64 v2, 0, 0x100, vcc_lo
	v_ldexp_f64 v[2:3], v[10:11], v2
	v_rsq_f64_e32 v[4:5], v[2:3]
	v_mul_f64 v[6:7], v[2:3], v[4:5]
	v_mul_f64 v[4:5], v[4:5], 0.5
	v_fma_f64 v[13:14], -v[4:5], v[6:7], 0.5
	v_fma_f64 v[6:7], v[6:7], v[13:14], v[6:7]
	v_fma_f64 v[4:5], v[4:5], v[13:14], v[4:5]
	v_fma_f64 v[13:14], -v[6:7], v[6:7], v[2:3]
	v_fma_f64 v[6:7], v[13:14], v[4:5], v[6:7]
	v_fma_f64 v[13:14], -v[6:7], v[6:7], v[2:3]
	v_fma_f64 v[4:5], v[13:14], v[4:5], v[6:7]
	v_cndmask_b32_e64 v6, 0, 0xffffff80, vcc_lo
	v_cmp_class_f64_e64 vcc_lo, v[2:3], 0x260
	v_ldexp_f64 v[5:6], v[4:5], v6
	v_mov_b32_e32 v4, 0
	v_cndmask_b32_e32 v3, v6, v3, vcc_lo
	v_cndmask_b32_e32 v2, v5, v2, vcc_lo
	v_mov_b32_e32 v5, v4
	global_store_dwordx4 v[0:1], v[2:5], off
	s_and_b32 exec_lo, exec_lo, s1
	s_cbranch_execz .LBB50_52
; %bb.48:
	s_mov_b32 s2, exec_lo
	s_brev_b32 s1, -2
.LBB50_49:                              ; =>This Inner Loop Header: Depth=1
	s_ff1_i32_b32 s4, s2
	v_readlane_b32 s5, v12, s4
	s_lshl_b32 s4, 1, s4
	s_andn2_b32 s2, s2, s4
	s_min_i32 s1, s1, s5
	s_cmp_lg_u32 s2, 0
	s_cbranch_scc1 .LBB50_49
; %bb.50:
	v_mbcnt_lo_u32_b32 v0, exec_lo, 0
	s_mov_b32 s2, exec_lo
	v_cmpx_eq_u32_e32 0, v0
	s_xor_b32 s2, exec_lo, s2
	s_cbranch_execz .LBB50_52
; %bb.51:
	v_mov_b32_e32 v0, 0
	v_mov_b32_e32 v1, s1
	global_atomic_smin v0, v1, s[12:13]
.LBB50_52:
	s_or_b32 exec_lo, exec_lo, s3
	s_and_b32 exec_lo, exec_lo, s0
	s_cbranch_execz .LBB50_54
; %bb.53:
	v_add_co_u32 v0, vcc_lo, s8, v8
	v_add_co_ci_u32_e64 v1, null, s9, v9, vcc_lo
	v_mov_b32_e32 v2, 1
	s_waitcnt lgkmcnt(0)
	s_waitcnt_vscnt null, 0x0
	global_store_dword v[0:1], v2, off
.LBB50_54:
	s_endpgm
	.section	.rodata,"a",@progbits
	.p2align	6, 0x0
	.amdhsa_kernel _ZN9rocsparseL18csric0_hash_kernelILj256ELj64ELj16E21rocsparse_complex_numIdEEEviPKiS4_PT2_S4_PiS4_S7_S7_d21rocsparse_index_base_
		.amdhsa_group_segment_fixed_size 32768
		.amdhsa_private_segment_fixed_size 0
		.amdhsa_kernarg_size 84
		.amdhsa_user_sgpr_count 6
		.amdhsa_user_sgpr_private_segment_buffer 1
		.amdhsa_user_sgpr_dispatch_ptr 0
		.amdhsa_user_sgpr_queue_ptr 0
		.amdhsa_user_sgpr_kernarg_segment_ptr 1
		.amdhsa_user_sgpr_dispatch_id 0
		.amdhsa_user_sgpr_flat_scratch_init 0
		.amdhsa_user_sgpr_private_segment_size 0
		.amdhsa_wavefront_size32 1
		.amdhsa_uses_dynamic_stack 0
		.amdhsa_system_sgpr_private_segment_wavefront_offset 0
		.amdhsa_system_sgpr_workgroup_id_x 1
		.amdhsa_system_sgpr_workgroup_id_y 0
		.amdhsa_system_sgpr_workgroup_id_z 0
		.amdhsa_system_sgpr_workgroup_info 0
		.amdhsa_system_vgpr_workitem_id 0
		.amdhsa_next_free_vgpr 113
		.amdhsa_next_free_sgpr 30
		.amdhsa_reserve_vcc 1
		.amdhsa_reserve_flat_scratch 0
		.amdhsa_float_round_mode_32 0
		.amdhsa_float_round_mode_16_64 0
		.amdhsa_float_denorm_mode_32 3
		.amdhsa_float_denorm_mode_16_64 3
		.amdhsa_dx10_clamp 1
		.amdhsa_ieee_mode 1
		.amdhsa_fp16_overflow 0
		.amdhsa_workgroup_processor_mode 1
		.amdhsa_memory_ordered 1
		.amdhsa_forward_progress 1
		.amdhsa_shared_vgpr_count 0
		.amdhsa_exception_fp_ieee_invalid_op 0
		.amdhsa_exception_fp_denorm_src 0
		.amdhsa_exception_fp_ieee_div_zero 0
		.amdhsa_exception_fp_ieee_overflow 0
		.amdhsa_exception_fp_ieee_underflow 0
		.amdhsa_exception_fp_ieee_inexact 0
		.amdhsa_exception_int_div_zero 0
	.end_amdhsa_kernel
	.section	.text._ZN9rocsparseL18csric0_hash_kernelILj256ELj64ELj16E21rocsparse_complex_numIdEEEviPKiS4_PT2_S4_PiS4_S7_S7_d21rocsparse_index_base_,"axG",@progbits,_ZN9rocsparseL18csric0_hash_kernelILj256ELj64ELj16E21rocsparse_complex_numIdEEEviPKiS4_PT2_S4_PiS4_S7_S7_d21rocsparse_index_base_,comdat
.Lfunc_end50:
	.size	_ZN9rocsparseL18csric0_hash_kernelILj256ELj64ELj16E21rocsparse_complex_numIdEEEviPKiS4_PT2_S4_PiS4_S7_S7_d21rocsparse_index_base_, .Lfunc_end50-_ZN9rocsparseL18csric0_hash_kernelILj256ELj64ELj16E21rocsparse_complex_numIdEEEviPKiS4_PT2_S4_PiS4_S7_S7_d21rocsparse_index_base_
                                        ; -- End function
	.set _ZN9rocsparseL18csric0_hash_kernelILj256ELj64ELj16E21rocsparse_complex_numIdEEEviPKiS4_PT2_S4_PiS4_S7_S7_d21rocsparse_index_base_.num_vgpr, 50
	.set _ZN9rocsparseL18csric0_hash_kernelILj256ELj64ELj16E21rocsparse_complex_numIdEEEviPKiS4_PT2_S4_PiS4_S7_S7_d21rocsparse_index_base_.num_agpr, 0
	.set _ZN9rocsparseL18csric0_hash_kernelILj256ELj64ELj16E21rocsparse_complex_numIdEEEviPKiS4_PT2_S4_PiS4_S7_S7_d21rocsparse_index_base_.numbered_sgpr, 30
	.set _ZN9rocsparseL18csric0_hash_kernelILj256ELj64ELj16E21rocsparse_complex_numIdEEEviPKiS4_PT2_S4_PiS4_S7_S7_d21rocsparse_index_base_.num_named_barrier, 0
	.set _ZN9rocsparseL18csric0_hash_kernelILj256ELj64ELj16E21rocsparse_complex_numIdEEEviPKiS4_PT2_S4_PiS4_S7_S7_d21rocsparse_index_base_.private_seg_size, 0
	.set _ZN9rocsparseL18csric0_hash_kernelILj256ELj64ELj16E21rocsparse_complex_numIdEEEviPKiS4_PT2_S4_PiS4_S7_S7_d21rocsparse_index_base_.uses_vcc, 1
	.set _ZN9rocsparseL18csric0_hash_kernelILj256ELj64ELj16E21rocsparse_complex_numIdEEEviPKiS4_PT2_S4_PiS4_S7_S7_d21rocsparse_index_base_.uses_flat_scratch, 0
	.set _ZN9rocsparseL18csric0_hash_kernelILj256ELj64ELj16E21rocsparse_complex_numIdEEEviPKiS4_PT2_S4_PiS4_S7_S7_d21rocsparse_index_base_.has_dyn_sized_stack, 0
	.set _ZN9rocsparseL18csric0_hash_kernelILj256ELj64ELj16E21rocsparse_complex_numIdEEEviPKiS4_PT2_S4_PiS4_S7_S7_d21rocsparse_index_base_.has_recursion, 0
	.set _ZN9rocsparseL18csric0_hash_kernelILj256ELj64ELj16E21rocsparse_complex_numIdEEEviPKiS4_PT2_S4_PiS4_S7_S7_d21rocsparse_index_base_.has_indirect_call, 0
	.section	.AMDGPU.csdata,"",@progbits
; Kernel info:
; codeLenInByte = 3300
; TotalNumSgprs: 32
; NumVgprs: 50
; ScratchSize: 0
; MemoryBound: 0
; FloatMode: 240
; IeeeMode: 1
; LDSByteSize: 32768 bytes/workgroup (compile time only)
; SGPRBlocks: 0
; VGPRBlocks: 14
; NumSGPRsForWavesPerEU: 32
; NumVGPRsForWavesPerEU: 113
; Occupancy: 8
; WaveLimiterHint : 1
; COMPUTE_PGM_RSRC2:SCRATCH_EN: 0
; COMPUTE_PGM_RSRC2:USER_SGPR: 6
; COMPUTE_PGM_RSRC2:TRAP_HANDLER: 0
; COMPUTE_PGM_RSRC2:TGID_X_EN: 1
; COMPUTE_PGM_RSRC2:TGID_Y_EN: 0
; COMPUTE_PGM_RSRC2:TGID_Z_EN: 0
; COMPUTE_PGM_RSRC2:TIDIG_COMP_CNT: 0
	.section	.text._ZN9rocsparseL23csric0_binsearch_kernelILj256ELj64ELb0E21rocsparse_complex_numIdEEEviPKiS4_PT2_S4_PiS4_S7_S7_d21rocsparse_index_base_,"axG",@progbits,_ZN9rocsparseL23csric0_binsearch_kernelILj256ELj64ELb0E21rocsparse_complex_numIdEEEviPKiS4_PT2_S4_PiS4_S7_S7_d21rocsparse_index_base_,comdat
	.globl	_ZN9rocsparseL23csric0_binsearch_kernelILj256ELj64ELb0E21rocsparse_complex_numIdEEEviPKiS4_PT2_S4_PiS4_S7_S7_d21rocsparse_index_base_ ; -- Begin function _ZN9rocsparseL23csric0_binsearch_kernelILj256ELj64ELb0E21rocsparse_complex_numIdEEEviPKiS4_PT2_S4_PiS4_S7_S7_d21rocsparse_index_base_
	.p2align	8
	.type	_ZN9rocsparseL23csric0_binsearch_kernelILj256ELj64ELb0E21rocsparse_complex_numIdEEEviPKiS4_PT2_S4_PiS4_S7_S7_d21rocsparse_index_base_,@function
_ZN9rocsparseL23csric0_binsearch_kernelILj256ELj64ELb0E21rocsparse_complex_numIdEEEviPKiS4_PT2_S4_PiS4_S7_S7_d21rocsparse_index_base_: ; @_ZN9rocsparseL23csric0_binsearch_kernelILj256ELj64ELb0E21rocsparse_complex_numIdEEEviPKiS4_PT2_S4_PiS4_S7_S7_d21rocsparse_index_base_
; %bb.0:
	s_load_dword s0, s[4:5], 0x0
	v_lshrrev_b32_e32 v1, 6, v0
	s_lshl_b32 s1, s6, 2
	v_and_or_b32 v1, 0x3fffffc, s1, v1
	s_waitcnt lgkmcnt(0)
	v_cmp_gt_i32_e32 vcc_lo, s0, v1
	s_and_saveexec_b32 s0, vcc_lo
	s_cbranch_execz .LBB51_53
; %bb.1:
	s_load_dwordx8 s[8:15], s[4:5], 0x18
	v_lshlrev_b32_e32 v1, 2, v1
	v_mov_b32_e32 v13, 0
	v_mov_b32_e32 v15, 0
	v_and_b32_e32 v12, 63, v0
	v_mov_b32_e32 v14, 0
	v_mov_b32_e32 v16, 0
	s_mov_b32 s20, exec_lo
	s_waitcnt lgkmcnt(0)
	global_load_dword v10, v1, s[14:15]
	s_load_dwordx2 s[14:15], s[4:5], 0x8
	s_waitcnt vmcnt(0)
	v_ashrrev_i32_e32 v11, 31, v10
	v_lshlrev_b64 v[8:9], 2, v[10:11]
	s_waitcnt lgkmcnt(0)
	v_add_co_u32 v1, vcc_lo, s14, v8
	v_add_co_ci_u32_e64 v2, null, s15, v9, vcc_lo
	v_add_co_u32 v3, vcc_lo, s10, v8
	v_add_co_ci_u32_e64 v4, null, s11, v9, vcc_lo
	global_load_dword v5, v[1:2], off
	global_load_dword v11, v[3:4], off
	s_clause 0x2
	s_load_dword s3, s[4:5], 0x50
	s_load_dwordx4 s[16:19], s[4:5], 0x38
	s_load_dwordx2 s[6:7], s[4:5], 0x48
	s_waitcnt vmcnt(1) lgkmcnt(0)
	v_subrev_nc_u32_e32 v29, s3, v5
	s_waitcnt vmcnt(0)
	v_cmpx_lt_i32_e64 v29, v11
	s_cbranch_execz .LBB51_34
; %bb.2:
	global_load_dword v0, v[1:2], off offset:4
	s_load_dwordx2 s[4:5], s[4:5], 0x10
	v_mov_b32_e32 v13, 0
	v_mov_b32_e32 v15, 0
	v_add_nc_u32_e32 v30, -1, v11
	v_cmp_eq_u32_e64 s0, 0, v12
	v_subrev_nc_u32_e32 v31, s3, v12
	v_cmp_eq_u32_e64 s1, 63, v12
	v_mov_b32_e32 v14, 0
	v_mov_b32_e32 v32, 0
	v_mbcnt_lo_u32_b32 v33, -1, 0
	v_mov_b32_e32 v16, 0
	v_mov_b32_e32 v17, v29
	s_mov_b32 s21, 0
	s_waitcnt vmcnt(0)
	v_xad_u32 v34, s3, -1, v0
	s_branch .LBB51_5
.LBB51_3:                               ;   in Loop: Header=BB51_5 Depth=1
	s_or_b32 exec_lo, exec_lo, s23
.LBB51_4:                               ;   in Loop: Header=BB51_5 Depth=1
	s_or_b32 exec_lo, exec_lo, s2
	v_add_nc_u32_e32 v17, 1, v17
	v_cmp_ge_i32_e32 vcc_lo, v17, v11
	s_or_b32 s2, s22, vcc_lo
	s_and_b32 s2, exec_lo, s2
	s_or_b32 s21, s2, s21
	s_andn2_b32 exec_lo, exec_lo, s21
	s_cbranch_execz .LBB51_33
.LBB51_5:                               ; =>This Loop Header: Depth=1
                                        ;     Child Loop BB51_7 Depth 2
                                        ;     Child Loop BB51_11 Depth 2
	;; [unrolled: 1-line block ×3, first 2 shown]
                                        ;       Child Loop BB51_19 Depth 3
                                        ;     Child Loop BB51_30 Depth 2
	v_ashrrev_i32_e32 v18, 31, v17
	s_mov_b32 s2, exec_lo
	v_lshlrev_b64 v[0:1], 2, v[17:18]
	v_lshlrev_b64 v[2:3], 4, v[17:18]
	s_waitcnt lgkmcnt(0)
	v_add_co_u32 v0, vcc_lo, s4, v0
	v_add_co_ci_u32_e64 v1, null, s5, v1, vcc_lo
	v_add_co_u32 v18, vcc_lo, s8, v2
	v_add_co_ci_u32_e64 v19, null, s9, v3, vcc_lo
	global_load_dword v22, v[0:1], off
	s_waitcnt vmcnt(0)
	v_subrev_nc_u32_e32 v0, s3, v22
	v_ashrrev_i32_e32 v1, 31, v0
	v_lshlrev_b64 v[0:1], 2, v[0:1]
	v_add_co_u32 v6, vcc_lo, s14, v0
	v_add_co_ci_u32_e64 v7, null, s15, v1, vcc_lo
	v_add_co_u32 v20, vcc_lo, s10, v0
	v_add_co_ci_u32_e64 v21, null, s11, v1, vcc_lo
	;; [unrolled: 2-line block ×3, first 2 shown]
	global_load_dwordx4 v[0:3], v[18:19], off
	global_load_dword v23, v[6:7], off
	global_load_dword v6, v[20:21], off
	global_load_dword v7, v[4:5], off glc dlc
	s_waitcnt vmcnt(0)
	v_cmpx_eq_u32_e32 0, v7
	s_cbranch_execz .LBB51_8
; %bb.6:                                ;   in Loop: Header=BB51_5 Depth=1
	s_mov_b32 s22, 0
.LBB51_7:                               ;   Parent Loop BB51_5 Depth=1
                                        ; =>  This Inner Loop Header: Depth=2
	global_load_dword v7, v[4:5], off glc dlc
	s_waitcnt vmcnt(0)
	v_cmp_ne_u32_e32 vcc_lo, 0, v7
	s_or_b32 s22, vcc_lo, s22
	s_andn2_b32 exec_lo, exec_lo, s22
	s_cbranch_execnz .LBB51_7
.LBB51_8:                               ;   in Loop: Header=BB51_5 Depth=1
	s_or_b32 exec_lo, exec_lo, s2
	v_cmp_eq_u32_e32 vcc_lo, -1, v6
	buffer_gl1_inv
	buffer_gl0_inv
	v_cndmask_b32_e32 v20, v6, v30, vcc_lo
	v_ashrrev_i32_e32 v21, 31, v20
	v_lshlrev_b64 v[4:5], 4, v[20:21]
	v_add_co_u32 v4, vcc_lo, s8, v4
	v_add_co_ci_u32_e64 v5, null, s9, v5, vcc_lo
	global_load_dwordx4 v[4:7], v[4:5], off
	s_waitcnt vmcnt(0)
	v_cmp_eq_f64_e64 s2, 0, v[4:5]
	v_cmp_eq_f64_e32 vcc_lo, 0, v[6:7]
	s_and_b32 s22, s2, vcc_lo
	s_xor_b32 s2, s22, -1
	s_and_saveexec_b32 s23, s2
	s_xor_b32 s23, exec_lo, s23
	s_cbranch_execz .LBB51_27
; %bb.9:                                ;   in Loop: Header=BB51_5 Depth=1
	v_cmp_ge_f64_e64 s2, s[6:7], v[4:5]
	s_and_b32 s2, s0, s2
	s_and_b32 s24, vcc_lo, s2
	s_and_saveexec_b32 s2, s24
	s_cbranch_execz .LBB51_14
; %bb.10:                               ;   in Loop: Header=BB51_5 Depth=1
	s_mov_b32 s25, exec_lo
	s_brev_b32 s24, -2
.LBB51_11:                              ;   Parent Loop BB51_5 Depth=1
                                        ; =>  This Inner Loop Header: Depth=2
	s_ff1_i32_b32 s26, s25
	v_readlane_b32 s27, v22, s26
	s_lshl_b32 s26, 1, s26
	s_andn2_b32 s25, s25, s26
	s_min_i32 s24, s24, s27
	s_cmp_lg_u32 s25, 0
	s_cbranch_scc1 .LBB51_11
; %bb.12:                               ;   in Loop: Header=BB51_5 Depth=1
	v_mbcnt_lo_u32_b32 v21, exec_lo, 0
	s_mov_b32 s25, exec_lo
	v_cmpx_eq_u32_e32 0, v21
	s_xor_b32 s25, exec_lo, s25
	s_cbranch_execz .LBB51_14
; %bb.13:                               ;   in Loop: Header=BB51_5 Depth=1
	v_mov_b32_e32 v21, s24
	global_atomic_smin v32, v21, s[18:19]
.LBB51_14:                              ;   in Loop: Header=BB51_5 Depth=1
	s_or_b32 exec_lo, exec_lo, s2
	v_add_nc_u32_e32 v25, v31, v23
	v_mov_b32_e32 v21, 0
	v_mov_b32_e32 v23, 0
	;; [unrolled: 1-line block ×4, first 2 shown]
	s_mov_b32 s2, exec_lo
	v_cmpx_lt_i32_e64 v25, v20
	s_cbranch_execz .LBB51_24
; %bb.15:                               ;   in Loop: Header=BB51_5 Depth=1
	v_mov_b32_e32 v21, 0
	v_mov_b32_e32 v23, 0
	v_mov_b32_e32 v22, 0
	v_mov_b32_e32 v24, 0
	v_mov_b32_e32 v35, v29
	s_mov_b32 s24, 0
	s_branch .LBB51_17
.LBB51_16:                              ;   in Loop: Header=BB51_17 Depth=2
	s_or_b32 exec_lo, exec_lo, s25
	v_add_nc_u32_e32 v25, 64, v25
	v_cmp_ge_i32_e32 vcc_lo, v25, v20
	s_or_b32 s24, vcc_lo, s24
	s_andn2_b32 exec_lo, exec_lo, s24
	s_cbranch_execz .LBB51_23
.LBB51_17:                              ;   Parent Loop BB51_5 Depth=1
                                        ; =>  This Loop Header: Depth=2
                                        ;       Child Loop BB51_19 Depth 3
	v_add_nc_u32_e32 v26, v35, v34
	s_mov_b32 s25, exec_lo
	v_ashrrev_i32_e32 v27, 1, v26
	v_ashrrev_i32_e32 v26, 31, v25
	;; [unrolled: 1-line block ×3, first 2 shown]
	v_lshlrev_b64 v[36:37], 2, v[25:26]
	v_lshlrev_b64 v[38:39], 2, v[27:28]
	v_add_co_u32 v36, vcc_lo, s4, v36
	v_add_co_ci_u32_e64 v37, null, s5, v37, vcc_lo
	v_add_co_u32 v38, vcc_lo, s4, v38
	v_add_co_ci_u32_e64 v39, null, s5, v39, vcc_lo
	s_clause 0x1
	global_load_dword v36, v[36:37], off
	global_load_dword v37, v[38:39], off
	v_cmpx_lt_i32_e64 v35, v34
	s_cbranch_execz .LBB51_21
; %bb.18:                               ;   in Loop: Header=BB51_17 Depth=2
	v_mov_b32_e32 v38, v34
	s_mov_b32 s26, 0
	.p2align	6
.LBB51_19:                              ;   Parent Loop BB51_5 Depth=1
                                        ;     Parent Loop BB51_17 Depth=2
                                        ; =>    This Inner Loop Header: Depth=3
	v_add_nc_u32_e32 v28, 1, v27
	s_waitcnt vmcnt(0)
	v_cmp_lt_i32_e32 vcc_lo, v37, v36
	v_cndmask_b32_e32 v38, v27, v38, vcc_lo
	v_cndmask_b32_e32 v35, v35, v28, vcc_lo
	v_add_nc_u32_e32 v27, v38, v35
	v_ashrrev_i32_e32 v27, 1, v27
	v_ashrrev_i32_e32 v28, 31, v27
	v_lshlrev_b64 v[39:40], 2, v[27:28]
	v_add_co_u32 v39, vcc_lo, s4, v39
	v_add_co_ci_u32_e64 v40, null, s5, v40, vcc_lo
	v_cmp_ge_i32_e32 vcc_lo, v35, v38
	global_load_dword v37, v[39:40], off
	s_or_b32 s26, vcc_lo, s26
	s_andn2_b32 exec_lo, exec_lo, s26
	s_cbranch_execnz .LBB51_19
; %bb.20:                               ;   in Loop: Header=BB51_17 Depth=2
	s_or_b32 exec_lo, exec_lo, s26
.LBB51_21:                              ;   in Loop: Header=BB51_17 Depth=2
	s_or_b32 exec_lo, exec_lo, s25
	s_mov_b32 s25, exec_lo
	s_waitcnt vmcnt(0)
	v_cmpx_eq_u32_e64 v37, v36
	s_cbranch_execz .LBB51_16
; %bb.22:                               ;   in Loop: Header=BB51_17 Depth=2
	v_lshlrev_b64 v[36:37], 4, v[25:26]
	v_lshlrev_b64 v[26:27], 4, v[27:28]
	v_add_co_u32 v36, vcc_lo, s8, v36
	v_add_co_ci_u32_e64 v37, null, s9, v37, vcc_lo
	v_add_co_u32 v26, vcc_lo, s8, v26
	v_add_co_ci_u32_e64 v27, null, s9, v27, vcc_lo
	s_clause 0x1
	global_load_dwordx4 v[36:39], v[36:37], off
	global_load_dwordx4 v[40:43], v[26:27], off
	s_waitcnt vmcnt(0)
	v_fma_f64 v[23:24], v[36:37], v[40:41], v[23:24]
	v_fma_f64 v[21:22], v[38:39], v[40:41], v[21:22]
	;; [unrolled: 1-line block ×3, first 2 shown]
	v_fma_f64 v[21:22], v[36:37], -v[42:43], v[21:22]
	s_branch .LBB51_16
.LBB51_23:                              ;   in Loop: Header=BB51_5 Depth=1
	s_or_b32 exec_lo, exec_lo, s24
.LBB51_24:                              ;   in Loop: Header=BB51_5 Depth=1
	s_or_b32 exec_lo, exec_lo, s2
	v_or_b32_e32 v20, 32, v33
	v_cmp_gt_i32_e32 vcc_lo, 32, v20
	v_cndmask_b32_e32 v20, v33, v20, vcc_lo
	v_lshlrev_b32_e32 v20, 2, v20
	ds_bpermute_b32 v25, v20, v23
	ds_bpermute_b32 v26, v20, v24
	;; [unrolled: 1-line block ×4, first 2 shown]
	s_waitcnt lgkmcnt(2)
	v_add_f64 v[23:24], v[23:24], v[25:26]
	s_waitcnt lgkmcnt(0)
	v_add_f64 v[20:21], v[21:22], v[27:28]
	v_xor_b32_e32 v22, 16, v33
	v_cmp_gt_i32_e32 vcc_lo, 32, v22
	v_cndmask_b32_e32 v22, v33, v22, vcc_lo
	v_lshlrev_b32_e32 v22, 2, v22
	ds_bpermute_b32 v25, v22, v23
	ds_bpermute_b32 v26, v22, v24
	;; [unrolled: 1-line block ×4, first 2 shown]
	s_waitcnt lgkmcnt(2)
	v_add_f64 v[22:23], v[23:24], v[25:26]
	v_xor_b32_e32 v24, 8, v33
	s_waitcnt lgkmcnt(0)
	v_add_f64 v[20:21], v[20:21], v[27:28]
	v_cmp_gt_i32_e32 vcc_lo, 32, v24
	v_cndmask_b32_e32 v24, v33, v24, vcc_lo
	v_lshlrev_b32_e32 v27, 2, v24
	ds_bpermute_b32 v24, v27, v22
	ds_bpermute_b32 v25, v27, v23
	;; [unrolled: 1-line block ×4, first 2 shown]
	s_waitcnt lgkmcnt(2)
	v_add_f64 v[22:23], v[22:23], v[24:25]
	v_xor_b32_e32 v24, 4, v33
	s_waitcnt lgkmcnt(0)
	v_add_f64 v[20:21], v[20:21], v[26:27]
	v_cmp_gt_i32_e32 vcc_lo, 32, v24
	v_cndmask_b32_e32 v24, v33, v24, vcc_lo
	v_lshlrev_b32_e32 v27, 2, v24
	ds_bpermute_b32 v24, v27, v22
	ds_bpermute_b32 v25, v27, v23
	;; [unrolled: 1-line block ×4, first 2 shown]
	s_waitcnt lgkmcnt(2)
	v_add_f64 v[22:23], v[22:23], v[24:25]
	s_waitcnt lgkmcnt(0)
	v_add_f64 v[24:25], v[20:21], v[26:27]
	v_xor_b32_e32 v20, 2, v33
	v_cmp_gt_i32_e32 vcc_lo, 32, v20
	v_cndmask_b32_e32 v20, v33, v20, vcc_lo
	v_lshlrev_b32_e32 v27, 2, v20
	ds_bpermute_b32 v20, v27, v22
	ds_bpermute_b32 v21, v27, v23
	;; [unrolled: 1-line block ×4, first 2 shown]
	s_waitcnt lgkmcnt(2)
	v_add_f64 v[20:21], v[22:23], v[20:21]
	s_waitcnt lgkmcnt(0)
	v_add_f64 v[22:23], v[24:25], v[26:27]
	v_xor_b32_e32 v24, 1, v33
	v_cmp_gt_i32_e32 vcc_lo, 32, v24
	v_cndmask_b32_e32 v24, v33, v24, vcc_lo
	v_lshlrev_b32_e32 v27, 2, v24
	ds_bpermute_b32 v24, v27, v20
	ds_bpermute_b32 v25, v27, v21
	;; [unrolled: 1-line block ×4, first 2 shown]
	s_and_saveexec_b32 s2, s1
	s_cbranch_execz .LBB51_26
; %bb.25:                               ;   in Loop: Header=BB51_5 Depth=1
	v_mul_f64 v[35:36], v[6:7], v[6:7]
	s_waitcnt lgkmcnt(0)
	v_add_f64 v[22:23], v[22:23], v[26:27]
	v_add_f64 v[20:21], v[20:21], v[24:25]
	v_fma_f64 v[35:36], v[4:5], v[4:5], v[35:36]
	v_add_f64 v[2:3], v[2:3], -v[22:23]
	v_add_f64 v[0:1], v[0:1], -v[20:21]
	v_div_scale_f64 v[37:38], null, v[35:36], v[35:36], 1.0
	v_div_scale_f64 v[43:44], vcc_lo, 1.0, v[35:36], 1.0
	v_rcp_f64_e32 v[39:40], v[37:38]
	v_fma_f64 v[41:42], -v[37:38], v[39:40], 1.0
	v_fma_f64 v[39:40], v[39:40], v[41:42], v[39:40]
	v_fma_f64 v[41:42], -v[37:38], v[39:40], 1.0
	v_fma_f64 v[39:40], v[39:40], v[41:42], v[39:40]
	v_mul_f64 v[41:42], v[43:44], v[39:40]
	v_fma_f64 v[37:38], -v[37:38], v[41:42], v[43:44]
	v_div_fmas_f64 v[37:38], v[37:38], v[39:40], v[41:42]
	v_fma_f64 v[39:40], v[4:5], 0, -v[6:7]
	v_fma_f64 v[4:5], v[6:7], 0, v[4:5]
	v_div_fixup_f64 v[26:27], v[37:38], v[35:36], 1.0
	v_mul_f64 v[6:7], v[39:40], v[26:27]
	v_mul_f64 v[4:5], v[4:5], v[26:27]
	v_mul_f64 v[20:21], v[6:7], -v[2:3]
	v_mul_f64 v[6:7], v[6:7], v[0:1]
	v_fma_f64 v[0:1], v[0:1], v[4:5], v[20:21]
	v_fma_f64 v[2:3], v[2:3], v[4:5], v[6:7]
	;; [unrolled: 1-line block ×4, first 2 shown]
	global_store_dwordx4 v[18:19], v[0:3], off
	v_fma_f64 v[15:16], v[2:3], v[2:3], v[4:5]
	v_fma_f64 v[13:14], v[0:1], -v[2:3], v[6:7]
.LBB51_26:                              ;   in Loop: Header=BB51_5 Depth=1
	s_or_b32 exec_lo, exec_lo, s2
                                        ; implicit-def: $vgpr22
.LBB51_27:                              ;   in Loop: Header=BB51_5 Depth=1
	s_andn2_saveexec_b32 s2, s23
	s_cbranch_execz .LBB51_4
; %bb.28:                               ;   in Loop: Header=BB51_5 Depth=1
	s_and_saveexec_b32 s23, s0
	s_cbranch_execz .LBB51_3
; %bb.29:                               ;   in Loop: Header=BB51_5 Depth=1
	s_mov_b32 s25, exec_lo
	s_brev_b32 s24, -2
.LBB51_30:                              ;   Parent Loop BB51_5 Depth=1
                                        ; =>  This Inner Loop Header: Depth=2
	s_ff1_i32_b32 s26, s25
	v_readlane_b32 s27, v22, s26
	s_lshl_b32 s26, 1, s26
	s_andn2_b32 s25, s25, s26
	s_min_i32 s24, s24, s27
	s_cmp_lg_u32 s25, 0
	s_cbranch_scc1 .LBB51_30
; %bb.31:                               ;   in Loop: Header=BB51_5 Depth=1
	v_mbcnt_lo_u32_b32 v0, exec_lo, 0
	s_mov_b32 s25, exec_lo
	v_cmpx_eq_u32_e32 0, v0
	s_xor_b32 s25, exec_lo, s25
	s_cbranch_execz .LBB51_3
; %bb.32:                               ;   in Loop: Header=BB51_5 Depth=1
	v_mov_b32_e32 v0, s24
	global_atomic_smin v32, v0, s[16:17]
	s_branch .LBB51_3
.LBB51_33:
	s_or_b32 exec_lo, exec_lo, s21
.LBB51_34:
	s_or_b32 exec_lo, exec_lo, s20
	v_cmp_eq_u32_e64 s0, 63, v12
	v_cmp_lt_i32_e32 vcc_lo, -1, v11
	s_and_b32 s1, s0, vcc_lo
	s_and_saveexec_b32 s4, s1
	s_cbranch_execz .LBB51_51
; %bb.35:
	v_mov_b32_e32 v12, 0
	v_mul_f64 v[6:7], s[6:7], s[6:7]
	v_add_nc_u32_e32 v10, s3, v10
	v_lshlrev_b64 v[0:1], 4, v[11:12]
	v_add_co_u32 v0, vcc_lo, s8, v0
	v_add_co_ci_u32_e64 v1, null, s9, v1, vcc_lo
	global_load_dwordx4 v[2:5], v[0:1], off
	s_waitcnt vmcnt(0)
	v_add_f64 v[4:5], v[4:5], -v[13:14]
	v_add_f64 v[2:3], v[2:3], -v[15:16]
	v_cmp_eq_f64_e64 s1, 0, v[4:5]
	v_cmp_le_f64_e64 s2, v[2:3], v[6:7]
	v_cmp_neq_f64_e32 vcc_lo, 0, v[4:5]
	s_and_b32 s1, s1, s2
	s_and_saveexec_b32 s2, s1
	s_cbranch_execz .LBB51_40
; %bb.36:
	s_mov_b32 s1, exec_lo
	s_brev_b32 s3, -2
.LBB51_37:                              ; =>This Inner Loop Header: Depth=1
	s_ff1_i32_b32 s5, s1
	v_readlane_b32 s6, v10, s5
	s_lshl_b32 s5, 1, s5
	s_andn2_b32 s1, s1, s5
	s_min_i32 s3, s3, s6
	s_cmp_lg_u32 s1, 0
	s_cbranch_scc1 .LBB51_37
; %bb.38:
	v_mbcnt_lo_u32_b32 v6, exec_lo, 0
	s_mov_b32 s5, exec_lo
	v_cmpx_eq_u32_e32 0, v6
	s_xor_b32 s5, exec_lo, s5
	s_cbranch_execz .LBB51_40
; %bb.39:
	v_mov_b32_e32 v6, 0
	v_mov_b32_e32 v7, s3
	global_atomic_smin v6, v7, s[18:19]
.LBB51_40:
	s_or_b32 exec_lo, exec_lo, s2
	v_cmp_gt_f64_e64 s1, 0, v[2:3]
	v_xor_b32_e32 v6, 0x80000000, v3
	v_xor_b32_e32 v7, 0x80000000, v5
	v_cndmask_b32_e64 v3, v3, v6, s1
	v_cmp_gt_f64_e64 s1, 0, v[4:5]
	v_cndmask_b32_e64 v5, v5, v7, s1
                                        ; implicit-def: $vgpr6_vgpr7
	v_cmp_ngt_f64_e64 s1, v[2:3], v[4:5]
	s_and_saveexec_b32 s2, s1
	s_xor_b32 s1, exec_lo, s2
	s_cbranch_execz .LBB51_44
; %bb.41:
	v_mov_b32_e32 v6, 0
	v_mov_b32_e32 v7, 0
	s_and_saveexec_b32 s2, vcc_lo
	s_cbranch_execz .LBB51_43
; %bb.42:
	v_div_scale_f64 v[6:7], null, v[4:5], v[4:5], v[2:3]
	v_div_scale_f64 v[15:16], vcc_lo, v[2:3], v[4:5], v[2:3]
	v_rcp_f64_e32 v[11:12], v[6:7]
	v_fma_f64 v[13:14], -v[6:7], v[11:12], 1.0
	v_fma_f64 v[11:12], v[11:12], v[13:14], v[11:12]
	v_fma_f64 v[13:14], -v[6:7], v[11:12], 1.0
	v_fma_f64 v[11:12], v[11:12], v[13:14], v[11:12]
	v_mul_f64 v[13:14], v[15:16], v[11:12]
	v_fma_f64 v[6:7], -v[6:7], v[13:14], v[15:16]
	v_div_fmas_f64 v[6:7], v[6:7], v[11:12], v[13:14]
	v_div_fixup_f64 v[2:3], v[6:7], v[4:5], v[2:3]
	v_fma_f64 v[2:3], v[2:3], v[2:3], 1.0
	v_cmp_gt_f64_e32 vcc_lo, 0x10000000, v[2:3]
	v_cndmask_b32_e64 v6, 0, 0x100, vcc_lo
	v_ldexp_f64 v[2:3], v[2:3], v6
	v_rsq_f64_e32 v[6:7], v[2:3]
	v_mul_f64 v[11:12], v[2:3], v[6:7]
	v_mul_f64 v[6:7], v[6:7], 0.5
	v_fma_f64 v[13:14], -v[6:7], v[11:12], 0.5
	v_fma_f64 v[11:12], v[11:12], v[13:14], v[11:12]
	v_fma_f64 v[6:7], v[6:7], v[13:14], v[6:7]
	v_fma_f64 v[13:14], -v[11:12], v[11:12], v[2:3]
	v_fma_f64 v[11:12], v[13:14], v[6:7], v[11:12]
	v_fma_f64 v[13:14], -v[11:12], v[11:12], v[2:3]
	v_fma_f64 v[6:7], v[13:14], v[6:7], v[11:12]
	v_cndmask_b32_e64 v11, 0, 0xffffff80, vcc_lo
	v_cmp_class_f64_e64 vcc_lo, v[2:3], 0x260
	v_ldexp_f64 v[6:7], v[6:7], v11
	v_cndmask_b32_e32 v3, v7, v3, vcc_lo
	v_cndmask_b32_e32 v2, v6, v2, vcc_lo
	v_mul_f64 v[6:7], v[4:5], v[2:3]
.LBB51_43:
	s_or_b32 exec_lo, exec_lo, s2
                                        ; implicit-def: $vgpr2_vgpr3
                                        ; implicit-def: $vgpr4_vgpr5
.LBB51_44:
	s_andn2_saveexec_b32 s1, s1
	s_cbranch_execz .LBB51_46
; %bb.45:
	v_div_scale_f64 v[6:7], null, v[2:3], v[2:3], v[4:5]
	v_div_scale_f64 v[15:16], vcc_lo, v[4:5], v[2:3], v[4:5]
	v_rcp_f64_e32 v[11:12], v[6:7]
	v_fma_f64 v[13:14], -v[6:7], v[11:12], 1.0
	v_fma_f64 v[11:12], v[11:12], v[13:14], v[11:12]
	v_fma_f64 v[13:14], -v[6:7], v[11:12], 1.0
	v_fma_f64 v[11:12], v[11:12], v[13:14], v[11:12]
	v_mul_f64 v[13:14], v[15:16], v[11:12]
	v_fma_f64 v[6:7], -v[6:7], v[13:14], v[15:16]
	v_div_fmas_f64 v[6:7], v[6:7], v[11:12], v[13:14]
	v_div_fixup_f64 v[4:5], v[6:7], v[2:3], v[4:5]
	v_fma_f64 v[4:5], v[4:5], v[4:5], 1.0
	v_cmp_gt_f64_e32 vcc_lo, 0x10000000, v[4:5]
	v_cndmask_b32_e64 v6, 0, 0x100, vcc_lo
	v_ldexp_f64 v[4:5], v[4:5], v6
	v_rsq_f64_e32 v[6:7], v[4:5]
	v_mul_f64 v[11:12], v[4:5], v[6:7]
	v_mul_f64 v[6:7], v[6:7], 0.5
	v_fma_f64 v[13:14], -v[6:7], v[11:12], 0.5
	v_fma_f64 v[11:12], v[11:12], v[13:14], v[11:12]
	v_fma_f64 v[6:7], v[6:7], v[13:14], v[6:7]
	v_fma_f64 v[13:14], -v[11:12], v[11:12], v[4:5]
	v_fma_f64 v[11:12], v[13:14], v[6:7], v[11:12]
	v_fma_f64 v[13:14], -v[11:12], v[11:12], v[4:5]
	v_fma_f64 v[6:7], v[13:14], v[6:7], v[11:12]
	v_cndmask_b32_e64 v11, 0, 0xffffff80, vcc_lo
	v_cmp_class_f64_e64 vcc_lo, v[4:5], 0x260
	v_ldexp_f64 v[6:7], v[6:7], v11
	v_cndmask_b32_e32 v5, v7, v5, vcc_lo
	v_cndmask_b32_e32 v4, v6, v4, vcc_lo
	v_mul_f64 v[6:7], v[2:3], v[4:5]
.LBB51_46:
	s_or_b32 exec_lo, exec_lo, s1
	v_cmp_gt_f64_e32 vcc_lo, 0x10000000, v[6:7]
	v_cmp_eq_f64_e64 s1, 0, v[6:7]
	v_cndmask_b32_e64 v2, 0, 0x100, vcc_lo
	v_ldexp_f64 v[2:3], v[6:7], v2
	v_rsq_f64_e32 v[4:5], v[2:3]
	v_mul_f64 v[11:12], v[2:3], v[4:5]
	v_mul_f64 v[4:5], v[4:5], 0.5
	v_fma_f64 v[13:14], -v[4:5], v[11:12], 0.5
	v_fma_f64 v[11:12], v[11:12], v[13:14], v[11:12]
	v_fma_f64 v[4:5], v[4:5], v[13:14], v[4:5]
	v_fma_f64 v[13:14], -v[11:12], v[11:12], v[2:3]
	v_fma_f64 v[11:12], v[13:14], v[4:5], v[11:12]
	v_fma_f64 v[13:14], -v[11:12], v[11:12], v[2:3]
	v_fma_f64 v[4:5], v[13:14], v[4:5], v[11:12]
	v_cndmask_b32_e64 v11, 0, 0xffffff80, vcc_lo
	v_cmp_class_f64_e64 vcc_lo, v[2:3], 0x260
	v_ldexp_f64 v[11:12], v[4:5], v11
	v_mov_b32_e32 v4, 0
	v_mov_b32_e32 v5, v4
	v_cndmask_b32_e32 v3, v12, v3, vcc_lo
	v_cndmask_b32_e32 v2, v11, v2, vcc_lo
	global_store_dwordx4 v[0:1], v[2:5], off
	s_and_b32 exec_lo, exec_lo, s1
	s_cbranch_execz .LBB51_51
; %bb.47:
	s_mov_b32 s2, exec_lo
	s_brev_b32 s1, -2
.LBB51_48:                              ; =>This Inner Loop Header: Depth=1
	s_ff1_i32_b32 s3, s2
	v_readlane_b32 s5, v10, s3
	s_lshl_b32 s3, 1, s3
	s_andn2_b32 s2, s2, s3
	s_min_i32 s1, s1, s5
	s_cmp_lg_u32 s2, 0
	s_cbranch_scc1 .LBB51_48
; %bb.49:
	v_mbcnt_lo_u32_b32 v0, exec_lo, 0
	s_mov_b32 s2, exec_lo
	v_cmpx_eq_u32_e32 0, v0
	s_xor_b32 s2, exec_lo, s2
	s_cbranch_execz .LBB51_51
; %bb.50:
	v_mov_b32_e32 v0, 0
	v_mov_b32_e32 v1, s1
	global_atomic_smin v0, v1, s[16:17]
.LBB51_51:
	s_or_b32 exec_lo, exec_lo, s4
	s_and_b32 exec_lo, exec_lo, s0
	s_cbranch_execz .LBB51_53
; %bb.52:
	v_add_co_u32 v0, vcc_lo, s12, v8
	v_add_co_ci_u32_e64 v1, null, s13, v9, vcc_lo
	v_mov_b32_e32 v2, 1
	s_waitcnt lgkmcnt(0)
	s_waitcnt_vscnt null, 0x0
	global_store_dword v[0:1], v2, off
.LBB51_53:
	s_endpgm
	.section	.rodata,"a",@progbits
	.p2align	6, 0x0
	.amdhsa_kernel _ZN9rocsparseL23csric0_binsearch_kernelILj256ELj64ELb0E21rocsparse_complex_numIdEEEviPKiS4_PT2_S4_PiS4_S7_S7_d21rocsparse_index_base_
		.amdhsa_group_segment_fixed_size 0
		.amdhsa_private_segment_fixed_size 0
		.amdhsa_kernarg_size 84
		.amdhsa_user_sgpr_count 6
		.amdhsa_user_sgpr_private_segment_buffer 1
		.amdhsa_user_sgpr_dispatch_ptr 0
		.amdhsa_user_sgpr_queue_ptr 0
		.amdhsa_user_sgpr_kernarg_segment_ptr 1
		.amdhsa_user_sgpr_dispatch_id 0
		.amdhsa_user_sgpr_flat_scratch_init 0
		.amdhsa_user_sgpr_private_segment_size 0
		.amdhsa_wavefront_size32 1
		.amdhsa_uses_dynamic_stack 0
		.amdhsa_system_sgpr_private_segment_wavefront_offset 0
		.amdhsa_system_sgpr_workgroup_id_x 1
		.amdhsa_system_sgpr_workgroup_id_y 0
		.amdhsa_system_sgpr_workgroup_id_z 0
		.amdhsa_system_sgpr_workgroup_info 0
		.amdhsa_system_vgpr_workitem_id 0
		.amdhsa_next_free_vgpr 45
		.amdhsa_next_free_sgpr 28
		.amdhsa_reserve_vcc 1
		.amdhsa_reserve_flat_scratch 0
		.amdhsa_float_round_mode_32 0
		.amdhsa_float_round_mode_16_64 0
		.amdhsa_float_denorm_mode_32 3
		.amdhsa_float_denorm_mode_16_64 3
		.amdhsa_dx10_clamp 1
		.amdhsa_ieee_mode 1
		.amdhsa_fp16_overflow 0
		.amdhsa_workgroup_processor_mode 1
		.amdhsa_memory_ordered 1
		.amdhsa_forward_progress 1
		.amdhsa_shared_vgpr_count 0
		.amdhsa_exception_fp_ieee_invalid_op 0
		.amdhsa_exception_fp_denorm_src 0
		.amdhsa_exception_fp_ieee_div_zero 0
		.amdhsa_exception_fp_ieee_overflow 0
		.amdhsa_exception_fp_ieee_underflow 0
		.amdhsa_exception_fp_ieee_inexact 0
		.amdhsa_exception_int_div_zero 0
	.end_amdhsa_kernel
	.section	.text._ZN9rocsparseL23csric0_binsearch_kernelILj256ELj64ELb0E21rocsparse_complex_numIdEEEviPKiS4_PT2_S4_PiS4_S7_S7_d21rocsparse_index_base_,"axG",@progbits,_ZN9rocsparseL23csric0_binsearch_kernelILj256ELj64ELb0E21rocsparse_complex_numIdEEEviPKiS4_PT2_S4_PiS4_S7_S7_d21rocsparse_index_base_,comdat
.Lfunc_end51:
	.size	_ZN9rocsparseL23csric0_binsearch_kernelILj256ELj64ELb0E21rocsparse_complex_numIdEEEviPKiS4_PT2_S4_PiS4_S7_S7_d21rocsparse_index_base_, .Lfunc_end51-_ZN9rocsparseL23csric0_binsearch_kernelILj256ELj64ELb0E21rocsparse_complex_numIdEEEviPKiS4_PT2_S4_PiS4_S7_S7_d21rocsparse_index_base_
                                        ; -- End function
	.set _ZN9rocsparseL23csric0_binsearch_kernelILj256ELj64ELb0E21rocsparse_complex_numIdEEEviPKiS4_PT2_S4_PiS4_S7_S7_d21rocsparse_index_base_.num_vgpr, 45
	.set _ZN9rocsparseL23csric0_binsearch_kernelILj256ELj64ELb0E21rocsparse_complex_numIdEEEviPKiS4_PT2_S4_PiS4_S7_S7_d21rocsparse_index_base_.num_agpr, 0
	.set _ZN9rocsparseL23csric0_binsearch_kernelILj256ELj64ELb0E21rocsparse_complex_numIdEEEviPKiS4_PT2_S4_PiS4_S7_S7_d21rocsparse_index_base_.numbered_sgpr, 28
	.set _ZN9rocsparseL23csric0_binsearch_kernelILj256ELj64ELb0E21rocsparse_complex_numIdEEEviPKiS4_PT2_S4_PiS4_S7_S7_d21rocsparse_index_base_.num_named_barrier, 0
	.set _ZN9rocsparseL23csric0_binsearch_kernelILj256ELj64ELb0E21rocsparse_complex_numIdEEEviPKiS4_PT2_S4_PiS4_S7_S7_d21rocsparse_index_base_.private_seg_size, 0
	.set _ZN9rocsparseL23csric0_binsearch_kernelILj256ELj64ELb0E21rocsparse_complex_numIdEEEviPKiS4_PT2_S4_PiS4_S7_S7_d21rocsparse_index_base_.uses_vcc, 1
	.set _ZN9rocsparseL23csric0_binsearch_kernelILj256ELj64ELb0E21rocsparse_complex_numIdEEEviPKiS4_PT2_S4_PiS4_S7_S7_d21rocsparse_index_base_.uses_flat_scratch, 0
	.set _ZN9rocsparseL23csric0_binsearch_kernelILj256ELj64ELb0E21rocsparse_complex_numIdEEEviPKiS4_PT2_S4_PiS4_S7_S7_d21rocsparse_index_base_.has_dyn_sized_stack, 0
	.set _ZN9rocsparseL23csric0_binsearch_kernelILj256ELj64ELb0E21rocsparse_complex_numIdEEEviPKiS4_PT2_S4_PiS4_S7_S7_d21rocsparse_index_base_.has_recursion, 0
	.set _ZN9rocsparseL23csric0_binsearch_kernelILj256ELj64ELb0E21rocsparse_complex_numIdEEEviPKiS4_PT2_S4_PiS4_S7_S7_d21rocsparse_index_base_.has_indirect_call, 0
	.section	.AMDGPU.csdata,"",@progbits
; Kernel info:
; codeLenInByte = 3052
; TotalNumSgprs: 30
; NumVgprs: 45
; ScratchSize: 0
; MemoryBound: 1
; FloatMode: 240
; IeeeMode: 1
; LDSByteSize: 0 bytes/workgroup (compile time only)
; SGPRBlocks: 0
; VGPRBlocks: 5
; NumSGPRsForWavesPerEU: 30
; NumVGPRsForWavesPerEU: 45
; Occupancy: 16
; WaveLimiterHint : 1
; COMPUTE_PGM_RSRC2:SCRATCH_EN: 0
; COMPUTE_PGM_RSRC2:USER_SGPR: 6
; COMPUTE_PGM_RSRC2:TRAP_HANDLER: 0
; COMPUTE_PGM_RSRC2:TGID_X_EN: 1
; COMPUTE_PGM_RSRC2:TGID_Y_EN: 0
; COMPUTE_PGM_RSRC2:TGID_Z_EN: 0
; COMPUTE_PGM_RSRC2:TIDIG_COMP_CNT: 0
	.section	.AMDGPU.gpr_maximums,"",@progbits
	.set amdgpu.max_num_vgpr, 0
	.set amdgpu.max_num_agpr, 0
	.set amdgpu.max_num_sgpr, 0
	.section	.AMDGPU.csdata,"",@progbits
	.type	__hip_cuid_4c4fb694f5d5fad2,@object ; @__hip_cuid_4c4fb694f5d5fad2
	.section	.bss,"aw",@nobits
	.globl	__hip_cuid_4c4fb694f5d5fad2
__hip_cuid_4c4fb694f5d5fad2:
	.byte	0                               ; 0x0
	.size	__hip_cuid_4c4fb694f5d5fad2, 1

	.ident	"AMD clang version 22.0.0git (https://github.com/RadeonOpenCompute/llvm-project roc-7.2.4 26084 f58b06dce1f9c15707c5f808fd002e18c2accf7e)"
	.section	".note.GNU-stack","",@progbits
	.addrsig
	.addrsig_sym __hip_cuid_4c4fb694f5d5fad2
	.amdgpu_metadata
---
amdhsa.kernels:
  - .args:
      - .offset:         0
        .size:           4
        .value_kind:     by_value
      - .actual_access:  read_only
        .address_space:  global
        .offset:         8
        .size:           8
        .value_kind:     global_buffer
      - .actual_access:  read_only
        .address_space:  global
        .offset:         16
        .size:           8
        .value_kind:     global_buffer
      - .address_space:  global
        .offset:         24
        .size:           8
        .value_kind:     global_buffer
      - .actual_access:  read_only
        .address_space:  global
        .offset:         32
        .size:           8
        .value_kind:     global_buffer
      - .address_space:  global
        .offset:         40
        .size:           8
        .value_kind:     global_buffer
      - .actual_access:  read_only
        .address_space:  global
        .offset:         48
        .size:           8
        .value_kind:     global_buffer
      - .address_space:  global
        .offset:         56
        .size:           8
        .value_kind:     global_buffer
      - .address_space:  global
        .offset:         64
        .size:           8
        .value_kind:     global_buffer
      - .offset:         72
        .size:           8
        .value_kind:     by_value
      - .offset:         80
        .size:           4
        .value_kind:     by_value
    .group_segment_fixed_size: 0
    .kernarg_segment_align: 8
    .kernarg_segment_size: 84
    .language:       OpenCL C
    .language_version:
      - 2
      - 0
    .max_flat_workgroup_size: 256
    .name:           _ZN9rocsparseL23csric0_binsearch_kernelILj256ELj64ELb1EfEEviPKiS2_PT2_S2_PiS2_S5_S5_d21rocsparse_index_base_
    .private_segment_fixed_size: 0
    .sgpr_count:     30
    .sgpr_spill_count: 0
    .symbol:         _ZN9rocsparseL23csric0_binsearch_kernelILj256ELj64ELb1EfEEviPKiS2_PT2_S2_PiS2_S5_S5_d21rocsparse_index_base_.kd
    .uniform_work_group_size: 1
    .uses_dynamic_stack: false
    .vgpr_count:     31
    .vgpr_spill_count: 0
    .wavefront_size: 32
    .workgroup_processor_mode: 1
  - .args:
      - .offset:         0
        .size:           4
        .value_kind:     by_value
      - .actual_access:  read_only
        .address_space:  global
        .offset:         8
        .size:           8
        .value_kind:     global_buffer
      - .actual_access:  read_only
        .address_space:  global
        .offset:         16
        .size:           8
        .value_kind:     global_buffer
      - .address_space:  global
        .offset:         24
        .size:           8
        .value_kind:     global_buffer
      - .actual_access:  read_only
        .address_space:  global
        .offset:         32
        .size:           8
        .value_kind:     global_buffer
      - .address_space:  global
        .offset:         40
        .size:           8
        .value_kind:     global_buffer
      - .actual_access:  read_only
        .address_space:  global
        .offset:         48
        .size:           8
        .value_kind:     global_buffer
      - .address_space:  global
        .offset:         56
        .size:           8
        .value_kind:     global_buffer
      - .address_space:  global
        .offset:         64
        .size:           8
        .value_kind:     global_buffer
      - .offset:         72
        .size:           8
        .value_kind:     by_value
      - .offset:         80
        .size:           4
        .value_kind:     by_value
    .group_segment_fixed_size: 2048
    .kernarg_segment_align: 8
    .kernarg_segment_size: 84
    .language:       OpenCL C
    .language_version:
      - 2
      - 0
    .max_flat_workgroup_size: 256
    .name:           _ZN9rocsparseL18csric0_hash_kernelILj256ELj32ELj1EfEEviPKiS2_PT2_S2_PiS2_S5_S5_d21rocsparse_index_base_
    .private_segment_fixed_size: 0
    .sgpr_count:     33
    .sgpr_spill_count: 0
    .symbol:         _ZN9rocsparseL18csric0_hash_kernelILj256ELj32ELj1EfEEviPKiS2_PT2_S2_PiS2_S5_S5_d21rocsparse_index_base_.kd
    .uniform_work_group_size: 1
    .uses_dynamic_stack: false
    .vgpr_count:     27
    .vgpr_spill_count: 0
    .wavefront_size: 32
    .workgroup_processor_mode: 1
  - .args:
      - .offset:         0
        .size:           4
        .value_kind:     by_value
      - .actual_access:  read_only
        .address_space:  global
        .offset:         8
        .size:           8
        .value_kind:     global_buffer
      - .actual_access:  read_only
        .address_space:  global
        .offset:         16
        .size:           8
        .value_kind:     global_buffer
      - .address_space:  global
        .offset:         24
        .size:           8
        .value_kind:     global_buffer
      - .actual_access:  read_only
        .address_space:  global
        .offset:         32
        .size:           8
        .value_kind:     global_buffer
      - .address_space:  global
        .offset:         40
        .size:           8
        .value_kind:     global_buffer
      - .actual_access:  read_only
        .address_space:  global
        .offset:         48
        .size:           8
        .value_kind:     global_buffer
      - .address_space:  global
        .offset:         56
        .size:           8
        .value_kind:     global_buffer
      - .address_space:  global
        .offset:         64
        .size:           8
        .value_kind:     global_buffer
      - .offset:         72
        .size:           8
        .value_kind:     by_value
      - .offset:         80
        .size:           4
        .value_kind:     by_value
    .group_segment_fixed_size: 4096
    .kernarg_segment_align: 8
    .kernarg_segment_size: 84
    .language:       OpenCL C
    .language_version:
      - 2
      - 0
    .max_flat_workgroup_size: 256
    .name:           _ZN9rocsparseL18csric0_hash_kernelILj256ELj32ELj2EfEEviPKiS2_PT2_S2_PiS2_S5_S5_d21rocsparse_index_base_
    .private_segment_fixed_size: 0
    .sgpr_count:     33
    .sgpr_spill_count: 0
    .symbol:         _ZN9rocsparseL18csric0_hash_kernelILj256ELj32ELj2EfEEviPKiS2_PT2_S2_PiS2_S5_S5_d21rocsparse_index_base_.kd
    .uniform_work_group_size: 1
    .uses_dynamic_stack: false
    .vgpr_count:     30
    .vgpr_spill_count: 0
    .wavefront_size: 32
    .workgroup_processor_mode: 1
  - .args:
      - .offset:         0
        .size:           4
        .value_kind:     by_value
      - .actual_access:  read_only
        .address_space:  global
        .offset:         8
        .size:           8
        .value_kind:     global_buffer
      - .actual_access:  read_only
        .address_space:  global
        .offset:         16
        .size:           8
        .value_kind:     global_buffer
      - .address_space:  global
        .offset:         24
        .size:           8
        .value_kind:     global_buffer
      - .actual_access:  read_only
        .address_space:  global
        .offset:         32
        .size:           8
        .value_kind:     global_buffer
      - .address_space:  global
        .offset:         40
        .size:           8
        .value_kind:     global_buffer
      - .actual_access:  read_only
        .address_space:  global
        .offset:         48
        .size:           8
        .value_kind:     global_buffer
      - .address_space:  global
        .offset:         56
        .size:           8
        .value_kind:     global_buffer
      - .address_space:  global
        .offset:         64
        .size:           8
        .value_kind:     global_buffer
      - .offset:         72
        .size:           8
        .value_kind:     by_value
      - .offset:         80
        .size:           4
        .value_kind:     by_value
    .group_segment_fixed_size: 8192
    .kernarg_segment_align: 8
    .kernarg_segment_size: 84
    .language:       OpenCL C
    .language_version:
      - 2
      - 0
    .max_flat_workgroup_size: 256
    .name:           _ZN9rocsparseL18csric0_hash_kernelILj256ELj32ELj4EfEEviPKiS2_PT2_S2_PiS2_S5_S5_d21rocsparse_index_base_
    .private_segment_fixed_size: 0
    .sgpr_count:     33
    .sgpr_spill_count: 0
    .symbol:         _ZN9rocsparseL18csric0_hash_kernelILj256ELj32ELj4EfEEviPKiS2_PT2_S2_PiS2_S5_S5_d21rocsparse_index_base_.kd
    .uniform_work_group_size: 1
    .uses_dynamic_stack: false
    .vgpr_count:     30
    .vgpr_spill_count: 0
    .wavefront_size: 32
    .workgroup_processor_mode: 1
  - .args:
      - .offset:         0
        .size:           4
        .value_kind:     by_value
      - .actual_access:  read_only
        .address_space:  global
        .offset:         8
        .size:           8
        .value_kind:     global_buffer
      - .actual_access:  read_only
        .address_space:  global
        .offset:         16
        .size:           8
        .value_kind:     global_buffer
      - .address_space:  global
        .offset:         24
        .size:           8
        .value_kind:     global_buffer
      - .actual_access:  read_only
        .address_space:  global
        .offset:         32
        .size:           8
        .value_kind:     global_buffer
      - .address_space:  global
        .offset:         40
        .size:           8
        .value_kind:     global_buffer
      - .actual_access:  read_only
        .address_space:  global
        .offset:         48
        .size:           8
        .value_kind:     global_buffer
      - .address_space:  global
        .offset:         56
        .size:           8
        .value_kind:     global_buffer
      - .address_space:  global
        .offset:         64
        .size:           8
        .value_kind:     global_buffer
      - .offset:         72
        .size:           8
        .value_kind:     by_value
      - .offset:         80
        .size:           4
        .value_kind:     by_value
    .group_segment_fixed_size: 16384
    .kernarg_segment_align: 8
    .kernarg_segment_size: 84
    .language:       OpenCL C
    .language_version:
      - 2
      - 0
    .max_flat_workgroup_size: 256
    .name:           _ZN9rocsparseL18csric0_hash_kernelILj256ELj32ELj8EfEEviPKiS2_PT2_S2_PiS2_S5_S5_d21rocsparse_index_base_
    .private_segment_fixed_size: 0
    .sgpr_count:     33
    .sgpr_spill_count: 0
    .symbol:         _ZN9rocsparseL18csric0_hash_kernelILj256ELj32ELj8EfEEviPKiS2_PT2_S2_PiS2_S5_S5_d21rocsparse_index_base_.kd
    .uniform_work_group_size: 1
    .uses_dynamic_stack: false
    .vgpr_count:     30
    .vgpr_spill_count: 0
    .wavefront_size: 32
    .workgroup_processor_mode: 1
  - .args:
      - .offset:         0
        .size:           4
        .value_kind:     by_value
      - .actual_access:  read_only
        .address_space:  global
        .offset:         8
        .size:           8
        .value_kind:     global_buffer
      - .actual_access:  read_only
        .address_space:  global
        .offset:         16
        .size:           8
        .value_kind:     global_buffer
      - .address_space:  global
        .offset:         24
        .size:           8
        .value_kind:     global_buffer
      - .actual_access:  read_only
        .address_space:  global
        .offset:         32
        .size:           8
        .value_kind:     global_buffer
      - .address_space:  global
        .offset:         40
        .size:           8
        .value_kind:     global_buffer
      - .actual_access:  read_only
        .address_space:  global
        .offset:         48
        .size:           8
        .value_kind:     global_buffer
      - .address_space:  global
        .offset:         56
        .size:           8
        .value_kind:     global_buffer
      - .address_space:  global
        .offset:         64
        .size:           8
        .value_kind:     global_buffer
      - .offset:         72
        .size:           8
        .value_kind:     by_value
      - .offset:         80
        .size:           4
        .value_kind:     by_value
    .group_segment_fixed_size: 32768
    .kernarg_segment_align: 8
    .kernarg_segment_size: 84
    .language:       OpenCL C
    .language_version:
      - 2
      - 0
    .max_flat_workgroup_size: 256
    .name:           _ZN9rocsparseL18csric0_hash_kernelILj256ELj32ELj16EfEEviPKiS2_PT2_S2_PiS2_S5_S5_d21rocsparse_index_base_
    .private_segment_fixed_size: 0
    .sgpr_count:     33
    .sgpr_spill_count: 0
    .symbol:         _ZN9rocsparseL18csric0_hash_kernelILj256ELj32ELj16EfEEviPKiS2_PT2_S2_PiS2_S5_S5_d21rocsparse_index_base_.kd
    .uniform_work_group_size: 1
    .uses_dynamic_stack: false
    .vgpr_count:     30
    .vgpr_spill_count: 0
    .wavefront_size: 32
    .workgroup_processor_mode: 1
  - .args:
      - .offset:         0
        .size:           4
        .value_kind:     by_value
      - .actual_access:  read_only
        .address_space:  global
        .offset:         8
        .size:           8
        .value_kind:     global_buffer
      - .actual_access:  read_only
        .address_space:  global
        .offset:         16
        .size:           8
        .value_kind:     global_buffer
      - .address_space:  global
        .offset:         24
        .size:           8
        .value_kind:     global_buffer
      - .actual_access:  read_only
        .address_space:  global
        .offset:         32
        .size:           8
        .value_kind:     global_buffer
      - .address_space:  global
        .offset:         40
        .size:           8
        .value_kind:     global_buffer
      - .actual_access:  read_only
        .address_space:  global
        .offset:         48
        .size:           8
        .value_kind:     global_buffer
      - .address_space:  global
        .offset:         56
        .size:           8
        .value_kind:     global_buffer
      - .address_space:  global
        .offset:         64
        .size:           8
        .value_kind:     global_buffer
      - .offset:         72
        .size:           8
        .value_kind:     by_value
      - .offset:         80
        .size:           4
        .value_kind:     by_value
    .group_segment_fixed_size: 0
    .kernarg_segment_align: 8
    .kernarg_segment_size: 84
    .language:       OpenCL C
    .language_version:
      - 2
      - 0
    .max_flat_workgroup_size: 256
    .name:           _ZN9rocsparseL23csric0_binsearch_kernelILj256ELj32ELb0EfEEviPKiS2_PT2_S2_PiS2_S5_S5_d21rocsparse_index_base_
    .private_segment_fixed_size: 0
    .sgpr_count:     30
    .sgpr_spill_count: 0
    .symbol:         _ZN9rocsparseL23csric0_binsearch_kernelILj256ELj32ELb0EfEEviPKiS2_PT2_S2_PiS2_S5_S5_d21rocsparse_index_base_.kd
    .uniform_work_group_size: 1
    .uses_dynamic_stack: false
    .vgpr_count:     31
    .vgpr_spill_count: 0
    .wavefront_size: 32
    .workgroup_processor_mode: 1
  - .args:
      - .offset:         0
        .size:           4
        .value_kind:     by_value
      - .actual_access:  read_only
        .address_space:  global
        .offset:         8
        .size:           8
        .value_kind:     global_buffer
      - .actual_access:  read_only
        .address_space:  global
        .offset:         16
        .size:           8
        .value_kind:     global_buffer
      - .address_space:  global
        .offset:         24
        .size:           8
        .value_kind:     global_buffer
      - .actual_access:  read_only
        .address_space:  global
        .offset:         32
        .size:           8
        .value_kind:     global_buffer
      - .address_space:  global
        .offset:         40
        .size:           8
        .value_kind:     global_buffer
      - .actual_access:  read_only
        .address_space:  global
        .offset:         48
        .size:           8
        .value_kind:     global_buffer
      - .address_space:  global
        .offset:         56
        .size:           8
        .value_kind:     global_buffer
      - .address_space:  global
        .offset:         64
        .size:           8
        .value_kind:     global_buffer
      - .offset:         72
        .size:           8
        .value_kind:     by_value
      - .offset:         80
        .size:           4
        .value_kind:     by_value
    .group_segment_fixed_size: 2048
    .kernarg_segment_align: 8
    .kernarg_segment_size: 84
    .language:       OpenCL C
    .language_version:
      - 2
      - 0
    .max_flat_workgroup_size: 256
    .name:           _ZN9rocsparseL18csric0_hash_kernelILj256ELj64ELj1EfEEviPKiS2_PT2_S2_PiS2_S5_S5_d21rocsparse_index_base_
    .private_segment_fixed_size: 0
    .sgpr_count:     33
    .sgpr_spill_count: 0
    .symbol:         _ZN9rocsparseL18csric0_hash_kernelILj256ELj64ELj1EfEEviPKiS2_PT2_S2_PiS2_S5_S5_d21rocsparse_index_base_.kd
    .uniform_work_group_size: 1
    .uses_dynamic_stack: false
    .vgpr_count:     27
    .vgpr_spill_count: 0
    .wavefront_size: 32
    .workgroup_processor_mode: 1
  - .args:
      - .offset:         0
        .size:           4
        .value_kind:     by_value
      - .actual_access:  read_only
        .address_space:  global
        .offset:         8
        .size:           8
        .value_kind:     global_buffer
      - .actual_access:  read_only
        .address_space:  global
        .offset:         16
        .size:           8
        .value_kind:     global_buffer
      - .address_space:  global
        .offset:         24
        .size:           8
        .value_kind:     global_buffer
      - .actual_access:  read_only
        .address_space:  global
        .offset:         32
        .size:           8
        .value_kind:     global_buffer
      - .address_space:  global
        .offset:         40
        .size:           8
        .value_kind:     global_buffer
      - .actual_access:  read_only
        .address_space:  global
        .offset:         48
        .size:           8
        .value_kind:     global_buffer
      - .address_space:  global
        .offset:         56
        .size:           8
        .value_kind:     global_buffer
      - .address_space:  global
        .offset:         64
        .size:           8
        .value_kind:     global_buffer
      - .offset:         72
        .size:           8
        .value_kind:     by_value
      - .offset:         80
        .size:           4
        .value_kind:     by_value
    .group_segment_fixed_size: 4096
    .kernarg_segment_align: 8
    .kernarg_segment_size: 84
    .language:       OpenCL C
    .language_version:
      - 2
      - 0
    .max_flat_workgroup_size: 256
    .name:           _ZN9rocsparseL18csric0_hash_kernelILj256ELj64ELj2EfEEviPKiS2_PT2_S2_PiS2_S5_S5_d21rocsparse_index_base_
    .private_segment_fixed_size: 0
    .sgpr_count:     33
    .sgpr_spill_count: 0
    .symbol:         _ZN9rocsparseL18csric0_hash_kernelILj256ELj64ELj2EfEEviPKiS2_PT2_S2_PiS2_S5_S5_d21rocsparse_index_base_.kd
    .uniform_work_group_size: 1
    .uses_dynamic_stack: false
    .vgpr_count:     31
    .vgpr_spill_count: 0
    .wavefront_size: 32
    .workgroup_processor_mode: 1
  - .args:
      - .offset:         0
        .size:           4
        .value_kind:     by_value
      - .actual_access:  read_only
        .address_space:  global
        .offset:         8
        .size:           8
        .value_kind:     global_buffer
      - .actual_access:  read_only
        .address_space:  global
        .offset:         16
        .size:           8
        .value_kind:     global_buffer
      - .address_space:  global
        .offset:         24
        .size:           8
        .value_kind:     global_buffer
      - .actual_access:  read_only
        .address_space:  global
        .offset:         32
        .size:           8
        .value_kind:     global_buffer
      - .address_space:  global
        .offset:         40
        .size:           8
        .value_kind:     global_buffer
      - .actual_access:  read_only
        .address_space:  global
        .offset:         48
        .size:           8
        .value_kind:     global_buffer
      - .address_space:  global
        .offset:         56
        .size:           8
        .value_kind:     global_buffer
      - .address_space:  global
        .offset:         64
        .size:           8
        .value_kind:     global_buffer
      - .offset:         72
        .size:           8
        .value_kind:     by_value
      - .offset:         80
        .size:           4
        .value_kind:     by_value
    .group_segment_fixed_size: 8192
    .kernarg_segment_align: 8
    .kernarg_segment_size: 84
    .language:       OpenCL C
    .language_version:
      - 2
      - 0
    .max_flat_workgroup_size: 256
    .name:           _ZN9rocsparseL18csric0_hash_kernelILj256ELj64ELj4EfEEviPKiS2_PT2_S2_PiS2_S5_S5_d21rocsparse_index_base_
    .private_segment_fixed_size: 0
    .sgpr_count:     33
    .sgpr_spill_count: 0
    .symbol:         _ZN9rocsparseL18csric0_hash_kernelILj256ELj64ELj4EfEEviPKiS2_PT2_S2_PiS2_S5_S5_d21rocsparse_index_base_.kd
    .uniform_work_group_size: 1
    .uses_dynamic_stack: false
    .vgpr_count:     31
    .vgpr_spill_count: 0
    .wavefront_size: 32
    .workgroup_processor_mode: 1
  - .args:
      - .offset:         0
        .size:           4
        .value_kind:     by_value
      - .actual_access:  read_only
        .address_space:  global
        .offset:         8
        .size:           8
        .value_kind:     global_buffer
      - .actual_access:  read_only
        .address_space:  global
        .offset:         16
        .size:           8
        .value_kind:     global_buffer
      - .address_space:  global
        .offset:         24
        .size:           8
        .value_kind:     global_buffer
      - .actual_access:  read_only
        .address_space:  global
        .offset:         32
        .size:           8
        .value_kind:     global_buffer
      - .address_space:  global
        .offset:         40
        .size:           8
        .value_kind:     global_buffer
      - .actual_access:  read_only
        .address_space:  global
        .offset:         48
        .size:           8
        .value_kind:     global_buffer
      - .address_space:  global
        .offset:         56
        .size:           8
        .value_kind:     global_buffer
      - .address_space:  global
        .offset:         64
        .size:           8
        .value_kind:     global_buffer
      - .offset:         72
        .size:           8
        .value_kind:     by_value
      - .offset:         80
        .size:           4
        .value_kind:     by_value
    .group_segment_fixed_size: 16384
    .kernarg_segment_align: 8
    .kernarg_segment_size: 84
    .language:       OpenCL C
    .language_version:
      - 2
      - 0
    .max_flat_workgroup_size: 256
    .name:           _ZN9rocsparseL18csric0_hash_kernelILj256ELj64ELj8EfEEviPKiS2_PT2_S2_PiS2_S5_S5_d21rocsparse_index_base_
    .private_segment_fixed_size: 0
    .sgpr_count:     33
    .sgpr_spill_count: 0
    .symbol:         _ZN9rocsparseL18csric0_hash_kernelILj256ELj64ELj8EfEEviPKiS2_PT2_S2_PiS2_S5_S5_d21rocsparse_index_base_.kd
    .uniform_work_group_size: 1
    .uses_dynamic_stack: false
    .vgpr_count:     31
    .vgpr_spill_count: 0
    .wavefront_size: 32
    .workgroup_processor_mode: 1
  - .args:
      - .offset:         0
        .size:           4
        .value_kind:     by_value
      - .actual_access:  read_only
        .address_space:  global
        .offset:         8
        .size:           8
        .value_kind:     global_buffer
      - .actual_access:  read_only
        .address_space:  global
        .offset:         16
        .size:           8
        .value_kind:     global_buffer
      - .address_space:  global
        .offset:         24
        .size:           8
        .value_kind:     global_buffer
      - .actual_access:  read_only
        .address_space:  global
        .offset:         32
        .size:           8
        .value_kind:     global_buffer
      - .address_space:  global
        .offset:         40
        .size:           8
        .value_kind:     global_buffer
      - .actual_access:  read_only
        .address_space:  global
        .offset:         48
        .size:           8
        .value_kind:     global_buffer
      - .address_space:  global
        .offset:         56
        .size:           8
        .value_kind:     global_buffer
      - .address_space:  global
        .offset:         64
        .size:           8
        .value_kind:     global_buffer
      - .offset:         72
        .size:           8
        .value_kind:     by_value
      - .offset:         80
        .size:           4
        .value_kind:     by_value
    .group_segment_fixed_size: 32768
    .kernarg_segment_align: 8
    .kernarg_segment_size: 84
    .language:       OpenCL C
    .language_version:
      - 2
      - 0
    .max_flat_workgroup_size: 256
    .name:           _ZN9rocsparseL18csric0_hash_kernelILj256ELj64ELj16EfEEviPKiS2_PT2_S2_PiS2_S5_S5_d21rocsparse_index_base_
    .private_segment_fixed_size: 0
    .sgpr_count:     33
    .sgpr_spill_count: 0
    .symbol:         _ZN9rocsparseL18csric0_hash_kernelILj256ELj64ELj16EfEEviPKiS2_PT2_S2_PiS2_S5_S5_d21rocsparse_index_base_.kd
    .uniform_work_group_size: 1
    .uses_dynamic_stack: false
    .vgpr_count:     31
    .vgpr_spill_count: 0
    .wavefront_size: 32
    .workgroup_processor_mode: 1
  - .args:
      - .offset:         0
        .size:           4
        .value_kind:     by_value
      - .actual_access:  read_only
        .address_space:  global
        .offset:         8
        .size:           8
        .value_kind:     global_buffer
      - .actual_access:  read_only
        .address_space:  global
        .offset:         16
        .size:           8
        .value_kind:     global_buffer
      - .address_space:  global
        .offset:         24
        .size:           8
        .value_kind:     global_buffer
      - .actual_access:  read_only
        .address_space:  global
        .offset:         32
        .size:           8
        .value_kind:     global_buffer
      - .address_space:  global
        .offset:         40
        .size:           8
        .value_kind:     global_buffer
      - .actual_access:  read_only
        .address_space:  global
        .offset:         48
        .size:           8
        .value_kind:     global_buffer
      - .address_space:  global
        .offset:         56
        .size:           8
        .value_kind:     global_buffer
      - .address_space:  global
        .offset:         64
        .size:           8
        .value_kind:     global_buffer
      - .offset:         72
        .size:           8
        .value_kind:     by_value
      - .offset:         80
        .size:           4
        .value_kind:     by_value
    .group_segment_fixed_size: 0
    .kernarg_segment_align: 8
    .kernarg_segment_size: 84
    .language:       OpenCL C
    .language_version:
      - 2
      - 0
    .max_flat_workgroup_size: 256
    .name:           _ZN9rocsparseL23csric0_binsearch_kernelILj256ELj64ELb0EfEEviPKiS2_PT2_S2_PiS2_S5_S5_d21rocsparse_index_base_
    .private_segment_fixed_size: 0
    .sgpr_count:     30
    .sgpr_spill_count: 0
    .symbol:         _ZN9rocsparseL23csric0_binsearch_kernelILj256ELj64ELb0EfEEviPKiS2_PT2_S2_PiS2_S5_S5_d21rocsparse_index_base_.kd
    .uniform_work_group_size: 1
    .uses_dynamic_stack: false
    .vgpr_count:     31
    .vgpr_spill_count: 0
    .wavefront_size: 32
    .workgroup_processor_mode: 1
  - .args:
      - .offset:         0
        .size:           4
        .value_kind:     by_value
      - .actual_access:  read_only
        .address_space:  global
        .offset:         8
        .size:           8
        .value_kind:     global_buffer
      - .actual_access:  read_only
        .address_space:  global
        .offset:         16
        .size:           8
        .value_kind:     global_buffer
      - .address_space:  global
        .offset:         24
        .size:           8
        .value_kind:     global_buffer
      - .actual_access:  read_only
        .address_space:  global
        .offset:         32
        .size:           8
        .value_kind:     global_buffer
      - .address_space:  global
        .offset:         40
        .size:           8
        .value_kind:     global_buffer
      - .actual_access:  read_only
        .address_space:  global
        .offset:         48
        .size:           8
        .value_kind:     global_buffer
      - .address_space:  global
        .offset:         56
        .size:           8
        .value_kind:     global_buffer
      - .address_space:  global
        .offset:         64
        .size:           8
        .value_kind:     global_buffer
      - .offset:         72
        .size:           8
        .value_kind:     by_value
      - .offset:         80
        .size:           4
        .value_kind:     by_value
    .group_segment_fixed_size: 0
    .kernarg_segment_align: 8
    .kernarg_segment_size: 84
    .language:       OpenCL C
    .language_version:
      - 2
      - 0
    .max_flat_workgroup_size: 256
    .name:           _ZN9rocsparseL23csric0_binsearch_kernelILj256ELj64ELb1EdEEviPKiS2_PT2_S2_PiS2_S5_S5_d21rocsparse_index_base_
    .private_segment_fixed_size: 0
    .sgpr_count:     30
    .sgpr_spill_count: 0
    .symbol:         _ZN9rocsparseL23csric0_binsearch_kernelILj256ELj64ELb1EdEEviPKiS2_PT2_S2_PiS2_S5_S5_d21rocsparse_index_base_.kd
    .uniform_work_group_size: 1
    .uses_dynamic_stack: false
    .vgpr_count:     33
    .vgpr_spill_count: 0
    .wavefront_size: 32
    .workgroup_processor_mode: 1
  - .args:
      - .offset:         0
        .size:           4
        .value_kind:     by_value
      - .actual_access:  read_only
        .address_space:  global
        .offset:         8
        .size:           8
        .value_kind:     global_buffer
      - .actual_access:  read_only
        .address_space:  global
        .offset:         16
        .size:           8
        .value_kind:     global_buffer
      - .address_space:  global
        .offset:         24
        .size:           8
        .value_kind:     global_buffer
      - .actual_access:  read_only
        .address_space:  global
        .offset:         32
        .size:           8
        .value_kind:     global_buffer
      - .address_space:  global
        .offset:         40
        .size:           8
        .value_kind:     global_buffer
      - .actual_access:  read_only
        .address_space:  global
        .offset:         48
        .size:           8
        .value_kind:     global_buffer
      - .address_space:  global
        .offset:         56
        .size:           8
        .value_kind:     global_buffer
      - .address_space:  global
        .offset:         64
        .size:           8
        .value_kind:     global_buffer
      - .offset:         72
        .size:           8
        .value_kind:     by_value
      - .offset:         80
        .size:           4
        .value_kind:     by_value
    .group_segment_fixed_size: 2048
    .kernarg_segment_align: 8
    .kernarg_segment_size: 84
    .language:       OpenCL C
    .language_version:
      - 2
      - 0
    .max_flat_workgroup_size: 256
    .name:           _ZN9rocsparseL18csric0_hash_kernelILj256ELj32ELj1EdEEviPKiS2_PT2_S2_PiS2_S5_S5_d21rocsparse_index_base_
    .private_segment_fixed_size: 0
    .sgpr_count:     33
    .sgpr_spill_count: 0
    .symbol:         _ZN9rocsparseL18csric0_hash_kernelILj256ELj32ELj1EdEEviPKiS2_PT2_S2_PiS2_S5_S5_d21rocsparse_index_base_.kd
    .uniform_work_group_size: 1
    .uses_dynamic_stack: false
    .vgpr_count:     33
    .vgpr_spill_count: 0
    .wavefront_size: 32
    .workgroup_processor_mode: 1
  - .args:
      - .offset:         0
        .size:           4
        .value_kind:     by_value
      - .actual_access:  read_only
        .address_space:  global
        .offset:         8
        .size:           8
        .value_kind:     global_buffer
      - .actual_access:  read_only
        .address_space:  global
        .offset:         16
        .size:           8
        .value_kind:     global_buffer
      - .address_space:  global
        .offset:         24
        .size:           8
        .value_kind:     global_buffer
      - .actual_access:  read_only
        .address_space:  global
        .offset:         32
        .size:           8
        .value_kind:     global_buffer
      - .address_space:  global
        .offset:         40
        .size:           8
        .value_kind:     global_buffer
      - .actual_access:  read_only
        .address_space:  global
        .offset:         48
        .size:           8
        .value_kind:     global_buffer
      - .address_space:  global
        .offset:         56
        .size:           8
        .value_kind:     global_buffer
      - .address_space:  global
        .offset:         64
        .size:           8
        .value_kind:     global_buffer
      - .offset:         72
        .size:           8
        .value_kind:     by_value
      - .offset:         80
        .size:           4
        .value_kind:     by_value
    .group_segment_fixed_size: 4096
    .kernarg_segment_align: 8
    .kernarg_segment_size: 84
    .language:       OpenCL C
    .language_version:
      - 2
      - 0
    .max_flat_workgroup_size: 256
    .name:           _ZN9rocsparseL18csric0_hash_kernelILj256ELj32ELj2EdEEviPKiS2_PT2_S2_PiS2_S5_S5_d21rocsparse_index_base_
    .private_segment_fixed_size: 0
    .sgpr_count:     33
    .sgpr_spill_count: 0
    .symbol:         _ZN9rocsparseL18csric0_hash_kernelILj256ELj32ELj2EdEEviPKiS2_PT2_S2_PiS2_S5_S5_d21rocsparse_index_base_.kd
    .uniform_work_group_size: 1
    .uses_dynamic_stack: false
    .vgpr_count:     38
    .vgpr_spill_count: 0
    .wavefront_size: 32
    .workgroup_processor_mode: 1
  - .args:
      - .offset:         0
        .size:           4
        .value_kind:     by_value
      - .actual_access:  read_only
        .address_space:  global
        .offset:         8
        .size:           8
        .value_kind:     global_buffer
      - .actual_access:  read_only
        .address_space:  global
        .offset:         16
        .size:           8
        .value_kind:     global_buffer
      - .address_space:  global
        .offset:         24
        .size:           8
        .value_kind:     global_buffer
      - .actual_access:  read_only
        .address_space:  global
        .offset:         32
        .size:           8
        .value_kind:     global_buffer
      - .address_space:  global
        .offset:         40
        .size:           8
        .value_kind:     global_buffer
      - .actual_access:  read_only
        .address_space:  global
        .offset:         48
        .size:           8
        .value_kind:     global_buffer
      - .address_space:  global
        .offset:         56
        .size:           8
        .value_kind:     global_buffer
      - .address_space:  global
        .offset:         64
        .size:           8
        .value_kind:     global_buffer
      - .offset:         72
        .size:           8
        .value_kind:     by_value
      - .offset:         80
        .size:           4
        .value_kind:     by_value
    .group_segment_fixed_size: 8192
    .kernarg_segment_align: 8
    .kernarg_segment_size: 84
    .language:       OpenCL C
    .language_version:
      - 2
      - 0
    .max_flat_workgroup_size: 256
    .name:           _ZN9rocsparseL18csric0_hash_kernelILj256ELj32ELj4EdEEviPKiS2_PT2_S2_PiS2_S5_S5_d21rocsparse_index_base_
    .private_segment_fixed_size: 0
    .sgpr_count:     33
    .sgpr_spill_count: 0
    .symbol:         _ZN9rocsparseL18csric0_hash_kernelILj256ELj32ELj4EdEEviPKiS2_PT2_S2_PiS2_S5_S5_d21rocsparse_index_base_.kd
    .uniform_work_group_size: 1
    .uses_dynamic_stack: false
    .vgpr_count:     38
    .vgpr_spill_count: 0
    .wavefront_size: 32
    .workgroup_processor_mode: 1
  - .args:
      - .offset:         0
        .size:           4
        .value_kind:     by_value
      - .actual_access:  read_only
        .address_space:  global
        .offset:         8
        .size:           8
        .value_kind:     global_buffer
      - .actual_access:  read_only
        .address_space:  global
        .offset:         16
        .size:           8
        .value_kind:     global_buffer
      - .address_space:  global
        .offset:         24
        .size:           8
        .value_kind:     global_buffer
      - .actual_access:  read_only
        .address_space:  global
        .offset:         32
        .size:           8
        .value_kind:     global_buffer
      - .address_space:  global
        .offset:         40
        .size:           8
        .value_kind:     global_buffer
      - .actual_access:  read_only
        .address_space:  global
        .offset:         48
        .size:           8
        .value_kind:     global_buffer
      - .address_space:  global
        .offset:         56
        .size:           8
        .value_kind:     global_buffer
      - .address_space:  global
        .offset:         64
        .size:           8
        .value_kind:     global_buffer
      - .offset:         72
        .size:           8
        .value_kind:     by_value
      - .offset:         80
        .size:           4
        .value_kind:     by_value
    .group_segment_fixed_size: 16384
    .kernarg_segment_align: 8
    .kernarg_segment_size: 84
    .language:       OpenCL C
    .language_version:
      - 2
      - 0
    .max_flat_workgroup_size: 256
    .name:           _ZN9rocsparseL18csric0_hash_kernelILj256ELj32ELj8EdEEviPKiS2_PT2_S2_PiS2_S5_S5_d21rocsparse_index_base_
    .private_segment_fixed_size: 0
    .sgpr_count:     33
    .sgpr_spill_count: 0
    .symbol:         _ZN9rocsparseL18csric0_hash_kernelILj256ELj32ELj8EdEEviPKiS2_PT2_S2_PiS2_S5_S5_d21rocsparse_index_base_.kd
    .uniform_work_group_size: 1
    .uses_dynamic_stack: false
    .vgpr_count:     38
    .vgpr_spill_count: 0
    .wavefront_size: 32
    .workgroup_processor_mode: 1
  - .args:
      - .offset:         0
        .size:           4
        .value_kind:     by_value
      - .actual_access:  read_only
        .address_space:  global
        .offset:         8
        .size:           8
        .value_kind:     global_buffer
      - .actual_access:  read_only
        .address_space:  global
        .offset:         16
        .size:           8
        .value_kind:     global_buffer
      - .address_space:  global
        .offset:         24
        .size:           8
        .value_kind:     global_buffer
      - .actual_access:  read_only
        .address_space:  global
        .offset:         32
        .size:           8
        .value_kind:     global_buffer
      - .address_space:  global
        .offset:         40
        .size:           8
        .value_kind:     global_buffer
      - .actual_access:  read_only
        .address_space:  global
        .offset:         48
        .size:           8
        .value_kind:     global_buffer
      - .address_space:  global
        .offset:         56
        .size:           8
        .value_kind:     global_buffer
      - .address_space:  global
        .offset:         64
        .size:           8
        .value_kind:     global_buffer
      - .offset:         72
        .size:           8
        .value_kind:     by_value
      - .offset:         80
        .size:           4
        .value_kind:     by_value
    .group_segment_fixed_size: 32768
    .kernarg_segment_align: 8
    .kernarg_segment_size: 84
    .language:       OpenCL C
    .language_version:
      - 2
      - 0
    .max_flat_workgroup_size: 256
    .name:           _ZN9rocsparseL18csric0_hash_kernelILj256ELj32ELj16EdEEviPKiS2_PT2_S2_PiS2_S5_S5_d21rocsparse_index_base_
    .private_segment_fixed_size: 0
    .sgpr_count:     33
    .sgpr_spill_count: 0
    .symbol:         _ZN9rocsparseL18csric0_hash_kernelILj256ELj32ELj16EdEEviPKiS2_PT2_S2_PiS2_S5_S5_d21rocsparse_index_base_.kd
    .uniform_work_group_size: 1
    .uses_dynamic_stack: false
    .vgpr_count:     38
    .vgpr_spill_count: 0
    .wavefront_size: 32
    .workgroup_processor_mode: 1
  - .args:
      - .offset:         0
        .size:           4
        .value_kind:     by_value
      - .actual_access:  read_only
        .address_space:  global
        .offset:         8
        .size:           8
        .value_kind:     global_buffer
      - .actual_access:  read_only
        .address_space:  global
        .offset:         16
        .size:           8
        .value_kind:     global_buffer
      - .address_space:  global
        .offset:         24
        .size:           8
        .value_kind:     global_buffer
      - .actual_access:  read_only
        .address_space:  global
        .offset:         32
        .size:           8
        .value_kind:     global_buffer
      - .address_space:  global
        .offset:         40
        .size:           8
        .value_kind:     global_buffer
      - .actual_access:  read_only
        .address_space:  global
        .offset:         48
        .size:           8
        .value_kind:     global_buffer
      - .address_space:  global
        .offset:         56
        .size:           8
        .value_kind:     global_buffer
      - .address_space:  global
        .offset:         64
        .size:           8
        .value_kind:     global_buffer
      - .offset:         72
        .size:           8
        .value_kind:     by_value
      - .offset:         80
        .size:           4
        .value_kind:     by_value
    .group_segment_fixed_size: 0
    .kernarg_segment_align: 8
    .kernarg_segment_size: 84
    .language:       OpenCL C
    .language_version:
      - 2
      - 0
    .max_flat_workgroup_size: 256
    .name:           _ZN9rocsparseL23csric0_binsearch_kernelILj256ELj32ELb0EdEEviPKiS2_PT2_S2_PiS2_S5_S5_d21rocsparse_index_base_
    .private_segment_fixed_size: 0
    .sgpr_count:     30
    .sgpr_spill_count: 0
    .symbol:         _ZN9rocsparseL23csric0_binsearch_kernelILj256ELj32ELb0EdEEviPKiS2_PT2_S2_PiS2_S5_S5_d21rocsparse_index_base_.kd
    .uniform_work_group_size: 1
    .uses_dynamic_stack: false
    .vgpr_count:     33
    .vgpr_spill_count: 0
    .wavefront_size: 32
    .workgroup_processor_mode: 1
  - .args:
      - .offset:         0
        .size:           4
        .value_kind:     by_value
      - .actual_access:  read_only
        .address_space:  global
        .offset:         8
        .size:           8
        .value_kind:     global_buffer
      - .actual_access:  read_only
        .address_space:  global
        .offset:         16
        .size:           8
        .value_kind:     global_buffer
      - .address_space:  global
        .offset:         24
        .size:           8
        .value_kind:     global_buffer
      - .actual_access:  read_only
        .address_space:  global
        .offset:         32
        .size:           8
        .value_kind:     global_buffer
      - .address_space:  global
        .offset:         40
        .size:           8
        .value_kind:     global_buffer
      - .actual_access:  read_only
        .address_space:  global
        .offset:         48
        .size:           8
        .value_kind:     global_buffer
      - .address_space:  global
        .offset:         56
        .size:           8
        .value_kind:     global_buffer
      - .address_space:  global
        .offset:         64
        .size:           8
        .value_kind:     global_buffer
      - .offset:         72
        .size:           8
        .value_kind:     by_value
      - .offset:         80
        .size:           4
        .value_kind:     by_value
    .group_segment_fixed_size: 2048
    .kernarg_segment_align: 8
    .kernarg_segment_size: 84
    .language:       OpenCL C
    .language_version:
      - 2
      - 0
    .max_flat_workgroup_size: 256
    .name:           _ZN9rocsparseL18csric0_hash_kernelILj256ELj64ELj1EdEEviPKiS2_PT2_S2_PiS2_S5_S5_d21rocsparse_index_base_
    .private_segment_fixed_size: 0
    .sgpr_count:     33
    .sgpr_spill_count: 0
    .symbol:         _ZN9rocsparseL18csric0_hash_kernelILj256ELj64ELj1EdEEviPKiS2_PT2_S2_PiS2_S5_S5_d21rocsparse_index_base_.kd
    .uniform_work_group_size: 1
    .uses_dynamic_stack: false
    .vgpr_count:     33
    .vgpr_spill_count: 0
    .wavefront_size: 32
    .workgroup_processor_mode: 1
  - .args:
      - .offset:         0
        .size:           4
        .value_kind:     by_value
      - .actual_access:  read_only
        .address_space:  global
        .offset:         8
        .size:           8
        .value_kind:     global_buffer
      - .actual_access:  read_only
        .address_space:  global
        .offset:         16
        .size:           8
        .value_kind:     global_buffer
      - .address_space:  global
        .offset:         24
        .size:           8
        .value_kind:     global_buffer
      - .actual_access:  read_only
        .address_space:  global
        .offset:         32
        .size:           8
        .value_kind:     global_buffer
      - .address_space:  global
        .offset:         40
        .size:           8
        .value_kind:     global_buffer
      - .actual_access:  read_only
        .address_space:  global
        .offset:         48
        .size:           8
        .value_kind:     global_buffer
      - .address_space:  global
        .offset:         56
        .size:           8
        .value_kind:     global_buffer
      - .address_space:  global
        .offset:         64
        .size:           8
        .value_kind:     global_buffer
      - .offset:         72
        .size:           8
        .value_kind:     by_value
      - .offset:         80
        .size:           4
        .value_kind:     by_value
    .group_segment_fixed_size: 4096
    .kernarg_segment_align: 8
    .kernarg_segment_size: 84
    .language:       OpenCL C
    .language_version:
      - 2
      - 0
    .max_flat_workgroup_size: 256
    .name:           _ZN9rocsparseL18csric0_hash_kernelILj256ELj64ELj2EdEEviPKiS2_PT2_S2_PiS2_S5_S5_d21rocsparse_index_base_
    .private_segment_fixed_size: 0
    .sgpr_count:     33
    .sgpr_spill_count: 0
    .symbol:         _ZN9rocsparseL18csric0_hash_kernelILj256ELj64ELj2EdEEviPKiS2_PT2_S2_PiS2_S5_S5_d21rocsparse_index_base_.kd
    .uniform_work_group_size: 1
    .uses_dynamic_stack: false
    .vgpr_count:     39
    .vgpr_spill_count: 0
    .wavefront_size: 32
    .workgroup_processor_mode: 1
  - .args:
      - .offset:         0
        .size:           4
        .value_kind:     by_value
      - .actual_access:  read_only
        .address_space:  global
        .offset:         8
        .size:           8
        .value_kind:     global_buffer
      - .actual_access:  read_only
        .address_space:  global
        .offset:         16
        .size:           8
        .value_kind:     global_buffer
      - .address_space:  global
        .offset:         24
        .size:           8
        .value_kind:     global_buffer
      - .actual_access:  read_only
        .address_space:  global
        .offset:         32
        .size:           8
        .value_kind:     global_buffer
      - .address_space:  global
        .offset:         40
        .size:           8
        .value_kind:     global_buffer
      - .actual_access:  read_only
        .address_space:  global
        .offset:         48
        .size:           8
        .value_kind:     global_buffer
      - .address_space:  global
        .offset:         56
        .size:           8
        .value_kind:     global_buffer
      - .address_space:  global
        .offset:         64
        .size:           8
        .value_kind:     global_buffer
      - .offset:         72
        .size:           8
        .value_kind:     by_value
      - .offset:         80
        .size:           4
        .value_kind:     by_value
    .group_segment_fixed_size: 8192
    .kernarg_segment_align: 8
    .kernarg_segment_size: 84
    .language:       OpenCL C
    .language_version:
      - 2
      - 0
    .max_flat_workgroup_size: 256
    .name:           _ZN9rocsparseL18csric0_hash_kernelILj256ELj64ELj4EdEEviPKiS2_PT2_S2_PiS2_S5_S5_d21rocsparse_index_base_
    .private_segment_fixed_size: 0
    .sgpr_count:     33
    .sgpr_spill_count: 0
    .symbol:         _ZN9rocsparseL18csric0_hash_kernelILj256ELj64ELj4EdEEviPKiS2_PT2_S2_PiS2_S5_S5_d21rocsparse_index_base_.kd
    .uniform_work_group_size: 1
    .uses_dynamic_stack: false
    .vgpr_count:     39
    .vgpr_spill_count: 0
    .wavefront_size: 32
    .workgroup_processor_mode: 1
  - .args:
      - .offset:         0
        .size:           4
        .value_kind:     by_value
      - .actual_access:  read_only
        .address_space:  global
        .offset:         8
        .size:           8
        .value_kind:     global_buffer
      - .actual_access:  read_only
        .address_space:  global
        .offset:         16
        .size:           8
        .value_kind:     global_buffer
      - .address_space:  global
        .offset:         24
        .size:           8
        .value_kind:     global_buffer
      - .actual_access:  read_only
        .address_space:  global
        .offset:         32
        .size:           8
        .value_kind:     global_buffer
      - .address_space:  global
        .offset:         40
        .size:           8
        .value_kind:     global_buffer
      - .actual_access:  read_only
        .address_space:  global
        .offset:         48
        .size:           8
        .value_kind:     global_buffer
      - .address_space:  global
        .offset:         56
        .size:           8
        .value_kind:     global_buffer
      - .address_space:  global
        .offset:         64
        .size:           8
        .value_kind:     global_buffer
      - .offset:         72
        .size:           8
        .value_kind:     by_value
      - .offset:         80
        .size:           4
        .value_kind:     by_value
    .group_segment_fixed_size: 16384
    .kernarg_segment_align: 8
    .kernarg_segment_size: 84
    .language:       OpenCL C
    .language_version:
      - 2
      - 0
    .max_flat_workgroup_size: 256
    .name:           _ZN9rocsparseL18csric0_hash_kernelILj256ELj64ELj8EdEEviPKiS2_PT2_S2_PiS2_S5_S5_d21rocsparse_index_base_
    .private_segment_fixed_size: 0
    .sgpr_count:     33
    .sgpr_spill_count: 0
    .symbol:         _ZN9rocsparseL18csric0_hash_kernelILj256ELj64ELj8EdEEviPKiS2_PT2_S2_PiS2_S5_S5_d21rocsparse_index_base_.kd
    .uniform_work_group_size: 1
    .uses_dynamic_stack: false
    .vgpr_count:     39
    .vgpr_spill_count: 0
    .wavefront_size: 32
    .workgroup_processor_mode: 1
  - .args:
      - .offset:         0
        .size:           4
        .value_kind:     by_value
      - .actual_access:  read_only
        .address_space:  global
        .offset:         8
        .size:           8
        .value_kind:     global_buffer
      - .actual_access:  read_only
        .address_space:  global
        .offset:         16
        .size:           8
        .value_kind:     global_buffer
      - .address_space:  global
        .offset:         24
        .size:           8
        .value_kind:     global_buffer
      - .actual_access:  read_only
        .address_space:  global
        .offset:         32
        .size:           8
        .value_kind:     global_buffer
      - .address_space:  global
        .offset:         40
        .size:           8
        .value_kind:     global_buffer
      - .actual_access:  read_only
        .address_space:  global
        .offset:         48
        .size:           8
        .value_kind:     global_buffer
      - .address_space:  global
        .offset:         56
        .size:           8
        .value_kind:     global_buffer
      - .address_space:  global
        .offset:         64
        .size:           8
        .value_kind:     global_buffer
      - .offset:         72
        .size:           8
        .value_kind:     by_value
      - .offset:         80
        .size:           4
        .value_kind:     by_value
    .group_segment_fixed_size: 32768
    .kernarg_segment_align: 8
    .kernarg_segment_size: 84
    .language:       OpenCL C
    .language_version:
      - 2
      - 0
    .max_flat_workgroup_size: 256
    .name:           _ZN9rocsparseL18csric0_hash_kernelILj256ELj64ELj16EdEEviPKiS2_PT2_S2_PiS2_S5_S5_d21rocsparse_index_base_
    .private_segment_fixed_size: 0
    .sgpr_count:     33
    .sgpr_spill_count: 0
    .symbol:         _ZN9rocsparseL18csric0_hash_kernelILj256ELj64ELj16EdEEviPKiS2_PT2_S2_PiS2_S5_S5_d21rocsparse_index_base_.kd
    .uniform_work_group_size: 1
    .uses_dynamic_stack: false
    .vgpr_count:     39
    .vgpr_spill_count: 0
    .wavefront_size: 32
    .workgroup_processor_mode: 1
  - .args:
      - .offset:         0
        .size:           4
        .value_kind:     by_value
      - .actual_access:  read_only
        .address_space:  global
        .offset:         8
        .size:           8
        .value_kind:     global_buffer
      - .actual_access:  read_only
        .address_space:  global
        .offset:         16
        .size:           8
        .value_kind:     global_buffer
      - .address_space:  global
        .offset:         24
        .size:           8
        .value_kind:     global_buffer
      - .actual_access:  read_only
        .address_space:  global
        .offset:         32
        .size:           8
        .value_kind:     global_buffer
      - .address_space:  global
        .offset:         40
        .size:           8
        .value_kind:     global_buffer
      - .actual_access:  read_only
        .address_space:  global
        .offset:         48
        .size:           8
        .value_kind:     global_buffer
      - .address_space:  global
        .offset:         56
        .size:           8
        .value_kind:     global_buffer
      - .address_space:  global
        .offset:         64
        .size:           8
        .value_kind:     global_buffer
      - .offset:         72
        .size:           8
        .value_kind:     by_value
      - .offset:         80
        .size:           4
        .value_kind:     by_value
    .group_segment_fixed_size: 0
    .kernarg_segment_align: 8
    .kernarg_segment_size: 84
    .language:       OpenCL C
    .language_version:
      - 2
      - 0
    .max_flat_workgroup_size: 256
    .name:           _ZN9rocsparseL23csric0_binsearch_kernelILj256ELj64ELb0EdEEviPKiS2_PT2_S2_PiS2_S5_S5_d21rocsparse_index_base_
    .private_segment_fixed_size: 0
    .sgpr_count:     30
    .sgpr_spill_count: 0
    .symbol:         _ZN9rocsparseL23csric0_binsearch_kernelILj256ELj64ELb0EdEEviPKiS2_PT2_S2_PiS2_S5_S5_d21rocsparse_index_base_.kd
    .uniform_work_group_size: 1
    .uses_dynamic_stack: false
    .vgpr_count:     33
    .vgpr_spill_count: 0
    .wavefront_size: 32
    .workgroup_processor_mode: 1
  - .args:
      - .offset:         0
        .size:           4
        .value_kind:     by_value
      - .actual_access:  read_only
        .address_space:  global
        .offset:         8
        .size:           8
        .value_kind:     global_buffer
      - .actual_access:  read_only
        .address_space:  global
        .offset:         16
        .size:           8
        .value_kind:     global_buffer
      - .address_space:  global
        .offset:         24
        .size:           8
        .value_kind:     global_buffer
      - .actual_access:  read_only
        .address_space:  global
        .offset:         32
        .size:           8
        .value_kind:     global_buffer
      - .address_space:  global
        .offset:         40
        .size:           8
        .value_kind:     global_buffer
      - .actual_access:  read_only
        .address_space:  global
        .offset:         48
        .size:           8
        .value_kind:     global_buffer
      - .address_space:  global
        .offset:         56
        .size:           8
        .value_kind:     global_buffer
      - .address_space:  global
        .offset:         64
        .size:           8
        .value_kind:     global_buffer
      - .offset:         72
        .size:           8
        .value_kind:     by_value
      - .offset:         80
        .size:           4
        .value_kind:     by_value
    .group_segment_fixed_size: 0
    .kernarg_segment_align: 8
    .kernarg_segment_size: 84
    .language:       OpenCL C
    .language_version:
      - 2
      - 0
    .max_flat_workgroup_size: 256
    .name:           _ZN9rocsparseL23csric0_binsearch_kernelILj256ELj64ELb1E21rocsparse_complex_numIfEEEviPKiS4_PT2_S4_PiS4_S7_S7_d21rocsparse_index_base_
    .private_segment_fixed_size: 0
    .sgpr_count:     30
    .sgpr_spill_count: 0
    .symbol:         _ZN9rocsparseL23csric0_binsearch_kernelILj256ELj64ELb1E21rocsparse_complex_numIfEEEviPKiS4_PT2_S4_PiS4_S7_S7_d21rocsparse_index_base_.kd
    .uniform_work_group_size: 1
    .uses_dynamic_stack: false
    .vgpr_count:     33
    .vgpr_spill_count: 0
    .wavefront_size: 32
    .workgroup_processor_mode: 1
  - .args:
      - .offset:         0
        .size:           4
        .value_kind:     by_value
      - .actual_access:  read_only
        .address_space:  global
        .offset:         8
        .size:           8
        .value_kind:     global_buffer
      - .actual_access:  read_only
        .address_space:  global
        .offset:         16
        .size:           8
        .value_kind:     global_buffer
      - .address_space:  global
        .offset:         24
        .size:           8
        .value_kind:     global_buffer
      - .actual_access:  read_only
        .address_space:  global
        .offset:         32
        .size:           8
        .value_kind:     global_buffer
      - .address_space:  global
        .offset:         40
        .size:           8
        .value_kind:     global_buffer
      - .actual_access:  read_only
        .address_space:  global
        .offset:         48
        .size:           8
        .value_kind:     global_buffer
      - .address_space:  global
        .offset:         56
        .size:           8
        .value_kind:     global_buffer
      - .address_space:  global
        .offset:         64
        .size:           8
        .value_kind:     global_buffer
      - .offset:         72
        .size:           8
        .value_kind:     by_value
      - .offset:         80
        .size:           4
        .value_kind:     by_value
    .group_segment_fixed_size: 2048
    .kernarg_segment_align: 8
    .kernarg_segment_size: 84
    .language:       OpenCL C
    .language_version:
      - 2
      - 0
    .max_flat_workgroup_size: 256
    .name:           _ZN9rocsparseL18csric0_hash_kernelILj256ELj32ELj1E21rocsparse_complex_numIfEEEviPKiS4_PT2_S4_PiS4_S7_S7_d21rocsparse_index_base_
    .private_segment_fixed_size: 0
    .sgpr_count:     32
    .sgpr_spill_count: 0
    .symbol:         _ZN9rocsparseL18csric0_hash_kernelILj256ELj32ELj1E21rocsparse_complex_numIfEEEviPKiS4_PT2_S4_PiS4_S7_S7_d21rocsparse_index_base_.kd
    .uniform_work_group_size: 1
    .uses_dynamic_stack: false
    .vgpr_count:     29
    .vgpr_spill_count: 0
    .wavefront_size: 32
    .workgroup_processor_mode: 1
  - .args:
      - .offset:         0
        .size:           4
        .value_kind:     by_value
      - .actual_access:  read_only
        .address_space:  global
        .offset:         8
        .size:           8
        .value_kind:     global_buffer
      - .actual_access:  read_only
        .address_space:  global
        .offset:         16
        .size:           8
        .value_kind:     global_buffer
      - .address_space:  global
        .offset:         24
        .size:           8
        .value_kind:     global_buffer
      - .actual_access:  read_only
        .address_space:  global
        .offset:         32
        .size:           8
        .value_kind:     global_buffer
      - .address_space:  global
        .offset:         40
        .size:           8
        .value_kind:     global_buffer
      - .actual_access:  read_only
        .address_space:  global
        .offset:         48
        .size:           8
        .value_kind:     global_buffer
      - .address_space:  global
        .offset:         56
        .size:           8
        .value_kind:     global_buffer
      - .address_space:  global
        .offset:         64
        .size:           8
        .value_kind:     global_buffer
      - .offset:         72
        .size:           8
        .value_kind:     by_value
      - .offset:         80
        .size:           4
        .value_kind:     by_value
    .group_segment_fixed_size: 4096
    .kernarg_segment_align: 8
    .kernarg_segment_size: 84
    .language:       OpenCL C
    .language_version:
      - 2
      - 0
    .max_flat_workgroup_size: 256
    .name:           _ZN9rocsparseL18csric0_hash_kernelILj256ELj32ELj2E21rocsparse_complex_numIfEEEviPKiS4_PT2_S4_PiS4_S7_S7_d21rocsparse_index_base_
    .private_segment_fixed_size: 0
    .sgpr_count:     32
    .sgpr_spill_count: 0
    .symbol:         _ZN9rocsparseL18csric0_hash_kernelILj256ELj32ELj2E21rocsparse_complex_numIfEEEviPKiS4_PT2_S4_PiS4_S7_S7_d21rocsparse_index_base_.kd
    .uniform_work_group_size: 1
    .uses_dynamic_stack: false
    .vgpr_count:     34
    .vgpr_spill_count: 0
    .wavefront_size: 32
    .workgroup_processor_mode: 1
  - .args:
      - .offset:         0
        .size:           4
        .value_kind:     by_value
      - .actual_access:  read_only
        .address_space:  global
        .offset:         8
        .size:           8
        .value_kind:     global_buffer
      - .actual_access:  read_only
        .address_space:  global
        .offset:         16
        .size:           8
        .value_kind:     global_buffer
      - .address_space:  global
        .offset:         24
        .size:           8
        .value_kind:     global_buffer
      - .actual_access:  read_only
        .address_space:  global
        .offset:         32
        .size:           8
        .value_kind:     global_buffer
      - .address_space:  global
        .offset:         40
        .size:           8
        .value_kind:     global_buffer
      - .actual_access:  read_only
        .address_space:  global
        .offset:         48
        .size:           8
        .value_kind:     global_buffer
      - .address_space:  global
        .offset:         56
        .size:           8
        .value_kind:     global_buffer
      - .address_space:  global
        .offset:         64
        .size:           8
        .value_kind:     global_buffer
      - .offset:         72
        .size:           8
        .value_kind:     by_value
      - .offset:         80
        .size:           4
        .value_kind:     by_value
    .group_segment_fixed_size: 8192
    .kernarg_segment_align: 8
    .kernarg_segment_size: 84
    .language:       OpenCL C
    .language_version:
      - 2
      - 0
    .max_flat_workgroup_size: 256
    .name:           _ZN9rocsparseL18csric0_hash_kernelILj256ELj32ELj4E21rocsparse_complex_numIfEEEviPKiS4_PT2_S4_PiS4_S7_S7_d21rocsparse_index_base_
    .private_segment_fixed_size: 0
    .sgpr_count:     32
    .sgpr_spill_count: 0
    .symbol:         _ZN9rocsparseL18csric0_hash_kernelILj256ELj32ELj4E21rocsparse_complex_numIfEEEviPKiS4_PT2_S4_PiS4_S7_S7_d21rocsparse_index_base_.kd
    .uniform_work_group_size: 1
    .uses_dynamic_stack: false
    .vgpr_count:     34
    .vgpr_spill_count: 0
    .wavefront_size: 32
    .workgroup_processor_mode: 1
  - .args:
      - .offset:         0
        .size:           4
        .value_kind:     by_value
      - .actual_access:  read_only
        .address_space:  global
        .offset:         8
        .size:           8
        .value_kind:     global_buffer
      - .actual_access:  read_only
        .address_space:  global
        .offset:         16
        .size:           8
        .value_kind:     global_buffer
      - .address_space:  global
        .offset:         24
        .size:           8
        .value_kind:     global_buffer
      - .actual_access:  read_only
        .address_space:  global
        .offset:         32
        .size:           8
        .value_kind:     global_buffer
      - .address_space:  global
        .offset:         40
        .size:           8
        .value_kind:     global_buffer
      - .actual_access:  read_only
        .address_space:  global
        .offset:         48
        .size:           8
        .value_kind:     global_buffer
      - .address_space:  global
        .offset:         56
        .size:           8
        .value_kind:     global_buffer
      - .address_space:  global
        .offset:         64
        .size:           8
        .value_kind:     global_buffer
      - .offset:         72
        .size:           8
        .value_kind:     by_value
      - .offset:         80
        .size:           4
        .value_kind:     by_value
    .group_segment_fixed_size: 16384
    .kernarg_segment_align: 8
    .kernarg_segment_size: 84
    .language:       OpenCL C
    .language_version:
      - 2
      - 0
    .max_flat_workgroup_size: 256
    .name:           _ZN9rocsparseL18csric0_hash_kernelILj256ELj32ELj8E21rocsparse_complex_numIfEEEviPKiS4_PT2_S4_PiS4_S7_S7_d21rocsparse_index_base_
    .private_segment_fixed_size: 0
    .sgpr_count:     32
    .sgpr_spill_count: 0
    .symbol:         _ZN9rocsparseL18csric0_hash_kernelILj256ELj32ELj8E21rocsparse_complex_numIfEEEviPKiS4_PT2_S4_PiS4_S7_S7_d21rocsparse_index_base_.kd
    .uniform_work_group_size: 1
    .uses_dynamic_stack: false
    .vgpr_count:     34
    .vgpr_spill_count: 0
    .wavefront_size: 32
    .workgroup_processor_mode: 1
  - .args:
      - .offset:         0
        .size:           4
        .value_kind:     by_value
      - .actual_access:  read_only
        .address_space:  global
        .offset:         8
        .size:           8
        .value_kind:     global_buffer
      - .actual_access:  read_only
        .address_space:  global
        .offset:         16
        .size:           8
        .value_kind:     global_buffer
      - .address_space:  global
        .offset:         24
        .size:           8
        .value_kind:     global_buffer
      - .actual_access:  read_only
        .address_space:  global
        .offset:         32
        .size:           8
        .value_kind:     global_buffer
      - .address_space:  global
        .offset:         40
        .size:           8
        .value_kind:     global_buffer
      - .actual_access:  read_only
        .address_space:  global
        .offset:         48
        .size:           8
        .value_kind:     global_buffer
      - .address_space:  global
        .offset:         56
        .size:           8
        .value_kind:     global_buffer
      - .address_space:  global
        .offset:         64
        .size:           8
        .value_kind:     global_buffer
      - .offset:         72
        .size:           8
        .value_kind:     by_value
      - .offset:         80
        .size:           4
        .value_kind:     by_value
    .group_segment_fixed_size: 32768
    .kernarg_segment_align: 8
    .kernarg_segment_size: 84
    .language:       OpenCL C
    .language_version:
      - 2
      - 0
    .max_flat_workgroup_size: 256
    .name:           _ZN9rocsparseL18csric0_hash_kernelILj256ELj32ELj16E21rocsparse_complex_numIfEEEviPKiS4_PT2_S4_PiS4_S7_S7_d21rocsparse_index_base_
    .private_segment_fixed_size: 0
    .sgpr_count:     32
    .sgpr_spill_count: 0
    .symbol:         _ZN9rocsparseL18csric0_hash_kernelILj256ELj32ELj16E21rocsparse_complex_numIfEEEviPKiS4_PT2_S4_PiS4_S7_S7_d21rocsparse_index_base_.kd
    .uniform_work_group_size: 1
    .uses_dynamic_stack: false
    .vgpr_count:     34
    .vgpr_spill_count: 0
    .wavefront_size: 32
    .workgroup_processor_mode: 1
  - .args:
      - .offset:         0
        .size:           4
        .value_kind:     by_value
      - .actual_access:  read_only
        .address_space:  global
        .offset:         8
        .size:           8
        .value_kind:     global_buffer
      - .actual_access:  read_only
        .address_space:  global
        .offset:         16
        .size:           8
        .value_kind:     global_buffer
      - .address_space:  global
        .offset:         24
        .size:           8
        .value_kind:     global_buffer
      - .actual_access:  read_only
        .address_space:  global
        .offset:         32
        .size:           8
        .value_kind:     global_buffer
      - .address_space:  global
        .offset:         40
        .size:           8
        .value_kind:     global_buffer
      - .actual_access:  read_only
        .address_space:  global
        .offset:         48
        .size:           8
        .value_kind:     global_buffer
      - .address_space:  global
        .offset:         56
        .size:           8
        .value_kind:     global_buffer
      - .address_space:  global
        .offset:         64
        .size:           8
        .value_kind:     global_buffer
      - .offset:         72
        .size:           8
        .value_kind:     by_value
      - .offset:         80
        .size:           4
        .value_kind:     by_value
    .group_segment_fixed_size: 0
    .kernarg_segment_align: 8
    .kernarg_segment_size: 84
    .language:       OpenCL C
    .language_version:
      - 2
      - 0
    .max_flat_workgroup_size: 256
    .name:           _ZN9rocsparseL23csric0_binsearch_kernelILj256ELj32ELb0E21rocsparse_complex_numIfEEEviPKiS4_PT2_S4_PiS4_S7_S7_d21rocsparse_index_base_
    .private_segment_fixed_size: 0
    .sgpr_count:     30
    .sgpr_spill_count: 0
    .symbol:         _ZN9rocsparseL23csric0_binsearch_kernelILj256ELj32ELb0E21rocsparse_complex_numIfEEEviPKiS4_PT2_S4_PiS4_S7_S7_d21rocsparse_index_base_.kd
    .uniform_work_group_size: 1
    .uses_dynamic_stack: false
    .vgpr_count:     33
    .vgpr_spill_count: 0
    .wavefront_size: 32
    .workgroup_processor_mode: 1
  - .args:
      - .offset:         0
        .size:           4
        .value_kind:     by_value
      - .actual_access:  read_only
        .address_space:  global
        .offset:         8
        .size:           8
        .value_kind:     global_buffer
      - .actual_access:  read_only
        .address_space:  global
        .offset:         16
        .size:           8
        .value_kind:     global_buffer
      - .address_space:  global
        .offset:         24
        .size:           8
        .value_kind:     global_buffer
      - .actual_access:  read_only
        .address_space:  global
        .offset:         32
        .size:           8
        .value_kind:     global_buffer
      - .address_space:  global
        .offset:         40
        .size:           8
        .value_kind:     global_buffer
      - .actual_access:  read_only
        .address_space:  global
        .offset:         48
        .size:           8
        .value_kind:     global_buffer
      - .address_space:  global
        .offset:         56
        .size:           8
        .value_kind:     global_buffer
      - .address_space:  global
        .offset:         64
        .size:           8
        .value_kind:     global_buffer
      - .offset:         72
        .size:           8
        .value_kind:     by_value
      - .offset:         80
        .size:           4
        .value_kind:     by_value
    .group_segment_fixed_size: 2048
    .kernarg_segment_align: 8
    .kernarg_segment_size: 84
    .language:       OpenCL C
    .language_version:
      - 2
      - 0
    .max_flat_workgroup_size: 256
    .name:           _ZN9rocsparseL18csric0_hash_kernelILj256ELj64ELj1E21rocsparse_complex_numIfEEEviPKiS4_PT2_S4_PiS4_S7_S7_d21rocsparse_index_base_
    .private_segment_fixed_size: 0
    .sgpr_count:     32
    .sgpr_spill_count: 0
    .symbol:         _ZN9rocsparseL18csric0_hash_kernelILj256ELj64ELj1E21rocsparse_complex_numIfEEEviPKiS4_PT2_S4_PiS4_S7_S7_d21rocsparse_index_base_.kd
    .uniform_work_group_size: 1
    .uses_dynamic_stack: false
    .vgpr_count:     29
    .vgpr_spill_count: 0
    .wavefront_size: 32
    .workgroup_processor_mode: 1
  - .args:
      - .offset:         0
        .size:           4
        .value_kind:     by_value
      - .actual_access:  read_only
        .address_space:  global
        .offset:         8
        .size:           8
        .value_kind:     global_buffer
      - .actual_access:  read_only
        .address_space:  global
        .offset:         16
        .size:           8
        .value_kind:     global_buffer
      - .address_space:  global
        .offset:         24
        .size:           8
        .value_kind:     global_buffer
      - .actual_access:  read_only
        .address_space:  global
        .offset:         32
        .size:           8
        .value_kind:     global_buffer
      - .address_space:  global
        .offset:         40
        .size:           8
        .value_kind:     global_buffer
      - .actual_access:  read_only
        .address_space:  global
        .offset:         48
        .size:           8
        .value_kind:     global_buffer
      - .address_space:  global
        .offset:         56
        .size:           8
        .value_kind:     global_buffer
      - .address_space:  global
        .offset:         64
        .size:           8
        .value_kind:     global_buffer
      - .offset:         72
        .size:           8
        .value_kind:     by_value
      - .offset:         80
        .size:           4
        .value_kind:     by_value
    .group_segment_fixed_size: 4096
    .kernarg_segment_align: 8
    .kernarg_segment_size: 84
    .language:       OpenCL C
    .language_version:
      - 2
      - 0
    .max_flat_workgroup_size: 256
    .name:           _ZN9rocsparseL18csric0_hash_kernelILj256ELj64ELj2E21rocsparse_complex_numIfEEEviPKiS4_PT2_S4_PiS4_S7_S7_d21rocsparse_index_base_
    .private_segment_fixed_size: 0
    .sgpr_count:     32
    .sgpr_spill_count: 0
    .symbol:         _ZN9rocsparseL18csric0_hash_kernelILj256ELj64ELj2E21rocsparse_complex_numIfEEEviPKiS4_PT2_S4_PiS4_S7_S7_d21rocsparse_index_base_.kd
    .uniform_work_group_size: 1
    .uses_dynamic_stack: false
    .vgpr_count:     35
    .vgpr_spill_count: 0
    .wavefront_size: 32
    .workgroup_processor_mode: 1
  - .args:
      - .offset:         0
        .size:           4
        .value_kind:     by_value
      - .actual_access:  read_only
        .address_space:  global
        .offset:         8
        .size:           8
        .value_kind:     global_buffer
      - .actual_access:  read_only
        .address_space:  global
        .offset:         16
        .size:           8
        .value_kind:     global_buffer
      - .address_space:  global
        .offset:         24
        .size:           8
        .value_kind:     global_buffer
      - .actual_access:  read_only
        .address_space:  global
        .offset:         32
        .size:           8
        .value_kind:     global_buffer
      - .address_space:  global
        .offset:         40
        .size:           8
        .value_kind:     global_buffer
      - .actual_access:  read_only
        .address_space:  global
        .offset:         48
        .size:           8
        .value_kind:     global_buffer
      - .address_space:  global
        .offset:         56
        .size:           8
        .value_kind:     global_buffer
      - .address_space:  global
        .offset:         64
        .size:           8
        .value_kind:     global_buffer
      - .offset:         72
        .size:           8
        .value_kind:     by_value
      - .offset:         80
        .size:           4
        .value_kind:     by_value
    .group_segment_fixed_size: 8192
    .kernarg_segment_align: 8
    .kernarg_segment_size: 84
    .language:       OpenCL C
    .language_version:
      - 2
      - 0
    .max_flat_workgroup_size: 256
    .name:           _ZN9rocsparseL18csric0_hash_kernelILj256ELj64ELj4E21rocsparse_complex_numIfEEEviPKiS4_PT2_S4_PiS4_S7_S7_d21rocsparse_index_base_
    .private_segment_fixed_size: 0
    .sgpr_count:     32
    .sgpr_spill_count: 0
    .symbol:         _ZN9rocsparseL18csric0_hash_kernelILj256ELj64ELj4E21rocsparse_complex_numIfEEEviPKiS4_PT2_S4_PiS4_S7_S7_d21rocsparse_index_base_.kd
    .uniform_work_group_size: 1
    .uses_dynamic_stack: false
    .vgpr_count:     35
    .vgpr_spill_count: 0
    .wavefront_size: 32
    .workgroup_processor_mode: 1
  - .args:
      - .offset:         0
        .size:           4
        .value_kind:     by_value
      - .actual_access:  read_only
        .address_space:  global
        .offset:         8
        .size:           8
        .value_kind:     global_buffer
      - .actual_access:  read_only
        .address_space:  global
        .offset:         16
        .size:           8
        .value_kind:     global_buffer
      - .address_space:  global
        .offset:         24
        .size:           8
        .value_kind:     global_buffer
      - .actual_access:  read_only
        .address_space:  global
        .offset:         32
        .size:           8
        .value_kind:     global_buffer
      - .address_space:  global
        .offset:         40
        .size:           8
        .value_kind:     global_buffer
      - .actual_access:  read_only
        .address_space:  global
        .offset:         48
        .size:           8
        .value_kind:     global_buffer
      - .address_space:  global
        .offset:         56
        .size:           8
        .value_kind:     global_buffer
      - .address_space:  global
        .offset:         64
        .size:           8
        .value_kind:     global_buffer
      - .offset:         72
        .size:           8
        .value_kind:     by_value
      - .offset:         80
        .size:           4
        .value_kind:     by_value
    .group_segment_fixed_size: 16384
    .kernarg_segment_align: 8
    .kernarg_segment_size: 84
    .language:       OpenCL C
    .language_version:
      - 2
      - 0
    .max_flat_workgroup_size: 256
    .name:           _ZN9rocsparseL18csric0_hash_kernelILj256ELj64ELj8E21rocsparse_complex_numIfEEEviPKiS4_PT2_S4_PiS4_S7_S7_d21rocsparse_index_base_
    .private_segment_fixed_size: 0
    .sgpr_count:     32
    .sgpr_spill_count: 0
    .symbol:         _ZN9rocsparseL18csric0_hash_kernelILj256ELj64ELj8E21rocsparse_complex_numIfEEEviPKiS4_PT2_S4_PiS4_S7_S7_d21rocsparse_index_base_.kd
    .uniform_work_group_size: 1
    .uses_dynamic_stack: false
    .vgpr_count:     35
    .vgpr_spill_count: 0
    .wavefront_size: 32
    .workgroup_processor_mode: 1
  - .args:
      - .offset:         0
        .size:           4
        .value_kind:     by_value
      - .actual_access:  read_only
        .address_space:  global
        .offset:         8
        .size:           8
        .value_kind:     global_buffer
      - .actual_access:  read_only
        .address_space:  global
        .offset:         16
        .size:           8
        .value_kind:     global_buffer
      - .address_space:  global
        .offset:         24
        .size:           8
        .value_kind:     global_buffer
      - .actual_access:  read_only
        .address_space:  global
        .offset:         32
        .size:           8
        .value_kind:     global_buffer
      - .address_space:  global
        .offset:         40
        .size:           8
        .value_kind:     global_buffer
      - .actual_access:  read_only
        .address_space:  global
        .offset:         48
        .size:           8
        .value_kind:     global_buffer
      - .address_space:  global
        .offset:         56
        .size:           8
        .value_kind:     global_buffer
      - .address_space:  global
        .offset:         64
        .size:           8
        .value_kind:     global_buffer
      - .offset:         72
        .size:           8
        .value_kind:     by_value
      - .offset:         80
        .size:           4
        .value_kind:     by_value
    .group_segment_fixed_size: 32768
    .kernarg_segment_align: 8
    .kernarg_segment_size: 84
    .language:       OpenCL C
    .language_version:
      - 2
      - 0
    .max_flat_workgroup_size: 256
    .name:           _ZN9rocsparseL18csric0_hash_kernelILj256ELj64ELj16E21rocsparse_complex_numIfEEEviPKiS4_PT2_S4_PiS4_S7_S7_d21rocsparse_index_base_
    .private_segment_fixed_size: 0
    .sgpr_count:     32
    .sgpr_spill_count: 0
    .symbol:         _ZN9rocsparseL18csric0_hash_kernelILj256ELj64ELj16E21rocsparse_complex_numIfEEEviPKiS4_PT2_S4_PiS4_S7_S7_d21rocsparse_index_base_.kd
    .uniform_work_group_size: 1
    .uses_dynamic_stack: false
    .vgpr_count:     35
    .vgpr_spill_count: 0
    .wavefront_size: 32
    .workgroup_processor_mode: 1
  - .args:
      - .offset:         0
        .size:           4
        .value_kind:     by_value
      - .actual_access:  read_only
        .address_space:  global
        .offset:         8
        .size:           8
        .value_kind:     global_buffer
      - .actual_access:  read_only
        .address_space:  global
        .offset:         16
        .size:           8
        .value_kind:     global_buffer
      - .address_space:  global
        .offset:         24
        .size:           8
        .value_kind:     global_buffer
      - .actual_access:  read_only
        .address_space:  global
        .offset:         32
        .size:           8
        .value_kind:     global_buffer
      - .address_space:  global
        .offset:         40
        .size:           8
        .value_kind:     global_buffer
      - .actual_access:  read_only
        .address_space:  global
        .offset:         48
        .size:           8
        .value_kind:     global_buffer
      - .address_space:  global
        .offset:         56
        .size:           8
        .value_kind:     global_buffer
      - .address_space:  global
        .offset:         64
        .size:           8
        .value_kind:     global_buffer
      - .offset:         72
        .size:           8
        .value_kind:     by_value
      - .offset:         80
        .size:           4
        .value_kind:     by_value
    .group_segment_fixed_size: 0
    .kernarg_segment_align: 8
    .kernarg_segment_size: 84
    .language:       OpenCL C
    .language_version:
      - 2
      - 0
    .max_flat_workgroup_size: 256
    .name:           _ZN9rocsparseL23csric0_binsearch_kernelILj256ELj64ELb0E21rocsparse_complex_numIfEEEviPKiS4_PT2_S4_PiS4_S7_S7_d21rocsparse_index_base_
    .private_segment_fixed_size: 0
    .sgpr_count:     30
    .sgpr_spill_count: 0
    .symbol:         _ZN9rocsparseL23csric0_binsearch_kernelILj256ELj64ELb0E21rocsparse_complex_numIfEEEviPKiS4_PT2_S4_PiS4_S7_S7_d21rocsparse_index_base_.kd
    .uniform_work_group_size: 1
    .uses_dynamic_stack: false
    .vgpr_count:     33
    .vgpr_spill_count: 0
    .wavefront_size: 32
    .workgroup_processor_mode: 1
  - .args:
      - .offset:         0
        .size:           4
        .value_kind:     by_value
      - .actual_access:  read_only
        .address_space:  global
        .offset:         8
        .size:           8
        .value_kind:     global_buffer
      - .actual_access:  read_only
        .address_space:  global
        .offset:         16
        .size:           8
        .value_kind:     global_buffer
      - .address_space:  global
        .offset:         24
        .size:           8
        .value_kind:     global_buffer
      - .actual_access:  read_only
        .address_space:  global
        .offset:         32
        .size:           8
        .value_kind:     global_buffer
      - .address_space:  global
        .offset:         40
        .size:           8
        .value_kind:     global_buffer
      - .actual_access:  read_only
        .address_space:  global
        .offset:         48
        .size:           8
        .value_kind:     global_buffer
      - .address_space:  global
        .offset:         56
        .size:           8
        .value_kind:     global_buffer
      - .address_space:  global
        .offset:         64
        .size:           8
        .value_kind:     global_buffer
      - .offset:         72
        .size:           8
        .value_kind:     by_value
      - .offset:         80
        .size:           4
        .value_kind:     by_value
    .group_segment_fixed_size: 0
    .kernarg_segment_align: 8
    .kernarg_segment_size: 84
    .language:       OpenCL C
    .language_version:
      - 2
      - 0
    .max_flat_workgroup_size: 256
    .name:           _ZN9rocsparseL23csric0_binsearch_kernelILj256ELj64ELb1E21rocsparse_complex_numIdEEEviPKiS4_PT2_S4_PiS4_S7_S7_d21rocsparse_index_base_
    .private_segment_fixed_size: 0
    .sgpr_count:     30
    .sgpr_spill_count: 0
    .symbol:         _ZN9rocsparseL23csric0_binsearch_kernelILj256ELj64ELb1E21rocsparse_complex_numIdEEEviPKiS4_PT2_S4_PiS4_S7_S7_d21rocsparse_index_base_.kd
    .uniform_work_group_size: 1
    .uses_dynamic_stack: false
    .vgpr_count:     45
    .vgpr_spill_count: 0
    .wavefront_size: 32
    .workgroup_processor_mode: 1
  - .args:
      - .offset:         0
        .size:           4
        .value_kind:     by_value
      - .actual_access:  read_only
        .address_space:  global
        .offset:         8
        .size:           8
        .value_kind:     global_buffer
      - .actual_access:  read_only
        .address_space:  global
        .offset:         16
        .size:           8
        .value_kind:     global_buffer
      - .address_space:  global
        .offset:         24
        .size:           8
        .value_kind:     global_buffer
      - .actual_access:  read_only
        .address_space:  global
        .offset:         32
        .size:           8
        .value_kind:     global_buffer
      - .address_space:  global
        .offset:         40
        .size:           8
        .value_kind:     global_buffer
      - .actual_access:  read_only
        .address_space:  global
        .offset:         48
        .size:           8
        .value_kind:     global_buffer
      - .address_space:  global
        .offset:         56
        .size:           8
        .value_kind:     global_buffer
      - .address_space:  global
        .offset:         64
        .size:           8
        .value_kind:     global_buffer
      - .offset:         72
        .size:           8
        .value_kind:     by_value
      - .offset:         80
        .size:           4
        .value_kind:     by_value
    .group_segment_fixed_size: 2048
    .kernarg_segment_align: 8
    .kernarg_segment_size: 84
    .language:       OpenCL C
    .language_version:
      - 2
      - 0
    .max_flat_workgroup_size: 256
    .name:           _ZN9rocsparseL18csric0_hash_kernelILj256ELj32ELj1E21rocsparse_complex_numIdEEEviPKiS4_PT2_S4_PiS4_S7_S7_d21rocsparse_index_base_
    .private_segment_fixed_size: 0
    .sgpr_count:     32
    .sgpr_spill_count: 0
    .symbol:         _ZN9rocsparseL18csric0_hash_kernelILj256ELj32ELj1E21rocsparse_complex_numIdEEEviPKiS4_PT2_S4_PiS4_S7_S7_d21rocsparse_index_base_.kd
    .uniform_work_group_size: 1
    .uses_dynamic_stack: false
    .vgpr_count:     44
    .vgpr_spill_count: 0
    .wavefront_size: 32
    .workgroup_processor_mode: 1
  - .args:
      - .offset:         0
        .size:           4
        .value_kind:     by_value
      - .actual_access:  read_only
        .address_space:  global
        .offset:         8
        .size:           8
        .value_kind:     global_buffer
      - .actual_access:  read_only
        .address_space:  global
        .offset:         16
        .size:           8
        .value_kind:     global_buffer
      - .address_space:  global
        .offset:         24
        .size:           8
        .value_kind:     global_buffer
      - .actual_access:  read_only
        .address_space:  global
        .offset:         32
        .size:           8
        .value_kind:     global_buffer
      - .address_space:  global
        .offset:         40
        .size:           8
        .value_kind:     global_buffer
      - .actual_access:  read_only
        .address_space:  global
        .offset:         48
        .size:           8
        .value_kind:     global_buffer
      - .address_space:  global
        .offset:         56
        .size:           8
        .value_kind:     global_buffer
      - .address_space:  global
        .offset:         64
        .size:           8
        .value_kind:     global_buffer
      - .offset:         72
        .size:           8
        .value_kind:     by_value
      - .offset:         80
        .size:           4
        .value_kind:     by_value
    .group_segment_fixed_size: 4096
    .kernarg_segment_align: 8
    .kernarg_segment_size: 84
    .language:       OpenCL C
    .language_version:
      - 2
      - 0
    .max_flat_workgroup_size: 256
    .name:           _ZN9rocsparseL18csric0_hash_kernelILj256ELj32ELj2E21rocsparse_complex_numIdEEEviPKiS4_PT2_S4_PiS4_S7_S7_d21rocsparse_index_base_
    .private_segment_fixed_size: 0
    .sgpr_count:     32
    .sgpr_spill_count: 0
    .symbol:         _ZN9rocsparseL18csric0_hash_kernelILj256ELj32ELj2E21rocsparse_complex_numIdEEEviPKiS4_PT2_S4_PiS4_S7_S7_d21rocsparse_index_base_.kd
    .uniform_work_group_size: 1
    .uses_dynamic_stack: false
    .vgpr_count:     49
    .vgpr_spill_count: 0
    .wavefront_size: 32
    .workgroup_processor_mode: 1
  - .args:
      - .offset:         0
        .size:           4
        .value_kind:     by_value
      - .actual_access:  read_only
        .address_space:  global
        .offset:         8
        .size:           8
        .value_kind:     global_buffer
      - .actual_access:  read_only
        .address_space:  global
        .offset:         16
        .size:           8
        .value_kind:     global_buffer
      - .address_space:  global
        .offset:         24
        .size:           8
        .value_kind:     global_buffer
      - .actual_access:  read_only
        .address_space:  global
        .offset:         32
        .size:           8
        .value_kind:     global_buffer
      - .address_space:  global
        .offset:         40
        .size:           8
        .value_kind:     global_buffer
      - .actual_access:  read_only
        .address_space:  global
        .offset:         48
        .size:           8
        .value_kind:     global_buffer
      - .address_space:  global
        .offset:         56
        .size:           8
        .value_kind:     global_buffer
      - .address_space:  global
        .offset:         64
        .size:           8
        .value_kind:     global_buffer
      - .offset:         72
        .size:           8
        .value_kind:     by_value
      - .offset:         80
        .size:           4
        .value_kind:     by_value
    .group_segment_fixed_size: 8192
    .kernarg_segment_align: 8
    .kernarg_segment_size: 84
    .language:       OpenCL C
    .language_version:
      - 2
      - 0
    .max_flat_workgroup_size: 256
    .name:           _ZN9rocsparseL18csric0_hash_kernelILj256ELj32ELj4E21rocsparse_complex_numIdEEEviPKiS4_PT2_S4_PiS4_S7_S7_d21rocsparse_index_base_
    .private_segment_fixed_size: 0
    .sgpr_count:     32
    .sgpr_spill_count: 0
    .symbol:         _ZN9rocsparseL18csric0_hash_kernelILj256ELj32ELj4E21rocsparse_complex_numIdEEEviPKiS4_PT2_S4_PiS4_S7_S7_d21rocsparse_index_base_.kd
    .uniform_work_group_size: 1
    .uses_dynamic_stack: false
    .vgpr_count:     49
    .vgpr_spill_count: 0
    .wavefront_size: 32
    .workgroup_processor_mode: 1
  - .args:
      - .offset:         0
        .size:           4
        .value_kind:     by_value
      - .actual_access:  read_only
        .address_space:  global
        .offset:         8
        .size:           8
        .value_kind:     global_buffer
      - .actual_access:  read_only
        .address_space:  global
        .offset:         16
        .size:           8
        .value_kind:     global_buffer
      - .address_space:  global
        .offset:         24
        .size:           8
        .value_kind:     global_buffer
      - .actual_access:  read_only
        .address_space:  global
        .offset:         32
        .size:           8
        .value_kind:     global_buffer
      - .address_space:  global
        .offset:         40
        .size:           8
        .value_kind:     global_buffer
      - .actual_access:  read_only
        .address_space:  global
        .offset:         48
        .size:           8
        .value_kind:     global_buffer
      - .address_space:  global
        .offset:         56
        .size:           8
        .value_kind:     global_buffer
      - .address_space:  global
        .offset:         64
        .size:           8
        .value_kind:     global_buffer
      - .offset:         72
        .size:           8
        .value_kind:     by_value
      - .offset:         80
        .size:           4
        .value_kind:     by_value
    .group_segment_fixed_size: 16384
    .kernarg_segment_align: 8
    .kernarg_segment_size: 84
    .language:       OpenCL C
    .language_version:
      - 2
      - 0
    .max_flat_workgroup_size: 256
    .name:           _ZN9rocsparseL18csric0_hash_kernelILj256ELj32ELj8E21rocsparse_complex_numIdEEEviPKiS4_PT2_S4_PiS4_S7_S7_d21rocsparse_index_base_
    .private_segment_fixed_size: 0
    .sgpr_count:     32
    .sgpr_spill_count: 0
    .symbol:         _ZN9rocsparseL18csric0_hash_kernelILj256ELj32ELj8E21rocsparse_complex_numIdEEEviPKiS4_PT2_S4_PiS4_S7_S7_d21rocsparse_index_base_.kd
    .uniform_work_group_size: 1
    .uses_dynamic_stack: false
    .vgpr_count:     49
    .vgpr_spill_count: 0
    .wavefront_size: 32
    .workgroup_processor_mode: 1
  - .args:
      - .offset:         0
        .size:           4
        .value_kind:     by_value
      - .actual_access:  read_only
        .address_space:  global
        .offset:         8
        .size:           8
        .value_kind:     global_buffer
      - .actual_access:  read_only
        .address_space:  global
        .offset:         16
        .size:           8
        .value_kind:     global_buffer
      - .address_space:  global
        .offset:         24
        .size:           8
        .value_kind:     global_buffer
      - .actual_access:  read_only
        .address_space:  global
        .offset:         32
        .size:           8
        .value_kind:     global_buffer
      - .address_space:  global
        .offset:         40
        .size:           8
        .value_kind:     global_buffer
      - .actual_access:  read_only
        .address_space:  global
        .offset:         48
        .size:           8
        .value_kind:     global_buffer
      - .address_space:  global
        .offset:         56
        .size:           8
        .value_kind:     global_buffer
      - .address_space:  global
        .offset:         64
        .size:           8
        .value_kind:     global_buffer
      - .offset:         72
        .size:           8
        .value_kind:     by_value
      - .offset:         80
        .size:           4
        .value_kind:     by_value
    .group_segment_fixed_size: 32768
    .kernarg_segment_align: 8
    .kernarg_segment_size: 84
    .language:       OpenCL C
    .language_version:
      - 2
      - 0
    .max_flat_workgroup_size: 256
    .name:           _ZN9rocsparseL18csric0_hash_kernelILj256ELj32ELj16E21rocsparse_complex_numIdEEEviPKiS4_PT2_S4_PiS4_S7_S7_d21rocsparse_index_base_
    .private_segment_fixed_size: 0
    .sgpr_count:     32
    .sgpr_spill_count: 0
    .symbol:         _ZN9rocsparseL18csric0_hash_kernelILj256ELj32ELj16E21rocsparse_complex_numIdEEEviPKiS4_PT2_S4_PiS4_S7_S7_d21rocsparse_index_base_.kd
    .uniform_work_group_size: 1
    .uses_dynamic_stack: false
    .vgpr_count:     49
    .vgpr_spill_count: 0
    .wavefront_size: 32
    .workgroup_processor_mode: 1
  - .args:
      - .offset:         0
        .size:           4
        .value_kind:     by_value
      - .actual_access:  read_only
        .address_space:  global
        .offset:         8
        .size:           8
        .value_kind:     global_buffer
      - .actual_access:  read_only
        .address_space:  global
        .offset:         16
        .size:           8
        .value_kind:     global_buffer
      - .address_space:  global
        .offset:         24
        .size:           8
        .value_kind:     global_buffer
      - .actual_access:  read_only
        .address_space:  global
        .offset:         32
        .size:           8
        .value_kind:     global_buffer
      - .address_space:  global
        .offset:         40
        .size:           8
        .value_kind:     global_buffer
      - .actual_access:  read_only
        .address_space:  global
        .offset:         48
        .size:           8
        .value_kind:     global_buffer
      - .address_space:  global
        .offset:         56
        .size:           8
        .value_kind:     global_buffer
      - .address_space:  global
        .offset:         64
        .size:           8
        .value_kind:     global_buffer
      - .offset:         72
        .size:           8
        .value_kind:     by_value
      - .offset:         80
        .size:           4
        .value_kind:     by_value
    .group_segment_fixed_size: 0
    .kernarg_segment_align: 8
    .kernarg_segment_size: 84
    .language:       OpenCL C
    .language_version:
      - 2
      - 0
    .max_flat_workgroup_size: 256
    .name:           _ZN9rocsparseL23csric0_binsearch_kernelILj256ELj32ELb0E21rocsparse_complex_numIdEEEviPKiS4_PT2_S4_PiS4_S7_S7_d21rocsparse_index_base_
    .private_segment_fixed_size: 0
    .sgpr_count:     30
    .sgpr_spill_count: 0
    .symbol:         _ZN9rocsparseL23csric0_binsearch_kernelILj256ELj32ELb0E21rocsparse_complex_numIdEEEviPKiS4_PT2_S4_PiS4_S7_S7_d21rocsparse_index_base_.kd
    .uniform_work_group_size: 1
    .uses_dynamic_stack: false
    .vgpr_count:     45
    .vgpr_spill_count: 0
    .wavefront_size: 32
    .workgroup_processor_mode: 1
  - .args:
      - .offset:         0
        .size:           4
        .value_kind:     by_value
      - .actual_access:  read_only
        .address_space:  global
        .offset:         8
        .size:           8
        .value_kind:     global_buffer
      - .actual_access:  read_only
        .address_space:  global
        .offset:         16
        .size:           8
        .value_kind:     global_buffer
      - .address_space:  global
        .offset:         24
        .size:           8
        .value_kind:     global_buffer
      - .actual_access:  read_only
        .address_space:  global
        .offset:         32
        .size:           8
        .value_kind:     global_buffer
      - .address_space:  global
        .offset:         40
        .size:           8
        .value_kind:     global_buffer
      - .actual_access:  read_only
        .address_space:  global
        .offset:         48
        .size:           8
        .value_kind:     global_buffer
      - .address_space:  global
        .offset:         56
        .size:           8
        .value_kind:     global_buffer
      - .address_space:  global
        .offset:         64
        .size:           8
        .value_kind:     global_buffer
      - .offset:         72
        .size:           8
        .value_kind:     by_value
      - .offset:         80
        .size:           4
        .value_kind:     by_value
    .group_segment_fixed_size: 2048
    .kernarg_segment_align: 8
    .kernarg_segment_size: 84
    .language:       OpenCL C
    .language_version:
      - 2
      - 0
    .max_flat_workgroup_size: 256
    .name:           _ZN9rocsparseL18csric0_hash_kernelILj256ELj64ELj1E21rocsparse_complex_numIdEEEviPKiS4_PT2_S4_PiS4_S7_S7_d21rocsparse_index_base_
    .private_segment_fixed_size: 0
    .sgpr_count:     32
    .sgpr_spill_count: 0
    .symbol:         _ZN9rocsparseL18csric0_hash_kernelILj256ELj64ELj1E21rocsparse_complex_numIdEEEviPKiS4_PT2_S4_PiS4_S7_S7_d21rocsparse_index_base_.kd
    .uniform_work_group_size: 1
    .uses_dynamic_stack: false
    .vgpr_count:     44
    .vgpr_spill_count: 0
    .wavefront_size: 32
    .workgroup_processor_mode: 1
  - .args:
      - .offset:         0
        .size:           4
        .value_kind:     by_value
      - .actual_access:  read_only
        .address_space:  global
        .offset:         8
        .size:           8
        .value_kind:     global_buffer
      - .actual_access:  read_only
        .address_space:  global
        .offset:         16
        .size:           8
        .value_kind:     global_buffer
      - .address_space:  global
        .offset:         24
        .size:           8
        .value_kind:     global_buffer
      - .actual_access:  read_only
        .address_space:  global
        .offset:         32
        .size:           8
        .value_kind:     global_buffer
      - .address_space:  global
        .offset:         40
        .size:           8
        .value_kind:     global_buffer
      - .actual_access:  read_only
        .address_space:  global
        .offset:         48
        .size:           8
        .value_kind:     global_buffer
      - .address_space:  global
        .offset:         56
        .size:           8
        .value_kind:     global_buffer
      - .address_space:  global
        .offset:         64
        .size:           8
        .value_kind:     global_buffer
      - .offset:         72
        .size:           8
        .value_kind:     by_value
      - .offset:         80
        .size:           4
        .value_kind:     by_value
    .group_segment_fixed_size: 4096
    .kernarg_segment_align: 8
    .kernarg_segment_size: 84
    .language:       OpenCL C
    .language_version:
      - 2
      - 0
    .max_flat_workgroup_size: 256
    .name:           _ZN9rocsparseL18csric0_hash_kernelILj256ELj64ELj2E21rocsparse_complex_numIdEEEviPKiS4_PT2_S4_PiS4_S7_S7_d21rocsparse_index_base_
    .private_segment_fixed_size: 0
    .sgpr_count:     32
    .sgpr_spill_count: 0
    .symbol:         _ZN9rocsparseL18csric0_hash_kernelILj256ELj64ELj2E21rocsparse_complex_numIdEEEviPKiS4_PT2_S4_PiS4_S7_S7_d21rocsparse_index_base_.kd
    .uniform_work_group_size: 1
    .uses_dynamic_stack: false
    .vgpr_count:     50
    .vgpr_spill_count: 0
    .wavefront_size: 32
    .workgroup_processor_mode: 1
  - .args:
      - .offset:         0
        .size:           4
        .value_kind:     by_value
      - .actual_access:  read_only
        .address_space:  global
        .offset:         8
        .size:           8
        .value_kind:     global_buffer
      - .actual_access:  read_only
        .address_space:  global
        .offset:         16
        .size:           8
        .value_kind:     global_buffer
      - .address_space:  global
        .offset:         24
        .size:           8
        .value_kind:     global_buffer
      - .actual_access:  read_only
        .address_space:  global
        .offset:         32
        .size:           8
        .value_kind:     global_buffer
      - .address_space:  global
        .offset:         40
        .size:           8
        .value_kind:     global_buffer
      - .actual_access:  read_only
        .address_space:  global
        .offset:         48
        .size:           8
        .value_kind:     global_buffer
      - .address_space:  global
        .offset:         56
        .size:           8
        .value_kind:     global_buffer
      - .address_space:  global
        .offset:         64
        .size:           8
        .value_kind:     global_buffer
      - .offset:         72
        .size:           8
        .value_kind:     by_value
      - .offset:         80
        .size:           4
        .value_kind:     by_value
    .group_segment_fixed_size: 8192
    .kernarg_segment_align: 8
    .kernarg_segment_size: 84
    .language:       OpenCL C
    .language_version:
      - 2
      - 0
    .max_flat_workgroup_size: 256
    .name:           _ZN9rocsparseL18csric0_hash_kernelILj256ELj64ELj4E21rocsparse_complex_numIdEEEviPKiS4_PT2_S4_PiS4_S7_S7_d21rocsparse_index_base_
    .private_segment_fixed_size: 0
    .sgpr_count:     32
    .sgpr_spill_count: 0
    .symbol:         _ZN9rocsparseL18csric0_hash_kernelILj256ELj64ELj4E21rocsparse_complex_numIdEEEviPKiS4_PT2_S4_PiS4_S7_S7_d21rocsparse_index_base_.kd
    .uniform_work_group_size: 1
    .uses_dynamic_stack: false
    .vgpr_count:     50
    .vgpr_spill_count: 0
    .wavefront_size: 32
    .workgroup_processor_mode: 1
  - .args:
      - .offset:         0
        .size:           4
        .value_kind:     by_value
      - .actual_access:  read_only
        .address_space:  global
        .offset:         8
        .size:           8
        .value_kind:     global_buffer
      - .actual_access:  read_only
        .address_space:  global
        .offset:         16
        .size:           8
        .value_kind:     global_buffer
      - .address_space:  global
        .offset:         24
        .size:           8
        .value_kind:     global_buffer
      - .actual_access:  read_only
        .address_space:  global
        .offset:         32
        .size:           8
        .value_kind:     global_buffer
      - .address_space:  global
        .offset:         40
        .size:           8
        .value_kind:     global_buffer
      - .actual_access:  read_only
        .address_space:  global
        .offset:         48
        .size:           8
        .value_kind:     global_buffer
      - .address_space:  global
        .offset:         56
        .size:           8
        .value_kind:     global_buffer
      - .address_space:  global
        .offset:         64
        .size:           8
        .value_kind:     global_buffer
      - .offset:         72
        .size:           8
        .value_kind:     by_value
      - .offset:         80
        .size:           4
        .value_kind:     by_value
    .group_segment_fixed_size: 16384
    .kernarg_segment_align: 8
    .kernarg_segment_size: 84
    .language:       OpenCL C
    .language_version:
      - 2
      - 0
    .max_flat_workgroup_size: 256
    .name:           _ZN9rocsparseL18csric0_hash_kernelILj256ELj64ELj8E21rocsparse_complex_numIdEEEviPKiS4_PT2_S4_PiS4_S7_S7_d21rocsparse_index_base_
    .private_segment_fixed_size: 0
    .sgpr_count:     32
    .sgpr_spill_count: 0
    .symbol:         _ZN9rocsparseL18csric0_hash_kernelILj256ELj64ELj8E21rocsparse_complex_numIdEEEviPKiS4_PT2_S4_PiS4_S7_S7_d21rocsparse_index_base_.kd
    .uniform_work_group_size: 1
    .uses_dynamic_stack: false
    .vgpr_count:     50
    .vgpr_spill_count: 0
    .wavefront_size: 32
    .workgroup_processor_mode: 1
  - .args:
      - .offset:         0
        .size:           4
        .value_kind:     by_value
      - .actual_access:  read_only
        .address_space:  global
        .offset:         8
        .size:           8
        .value_kind:     global_buffer
      - .actual_access:  read_only
        .address_space:  global
        .offset:         16
        .size:           8
        .value_kind:     global_buffer
      - .address_space:  global
        .offset:         24
        .size:           8
        .value_kind:     global_buffer
      - .actual_access:  read_only
        .address_space:  global
        .offset:         32
        .size:           8
        .value_kind:     global_buffer
      - .address_space:  global
        .offset:         40
        .size:           8
        .value_kind:     global_buffer
      - .actual_access:  read_only
        .address_space:  global
        .offset:         48
        .size:           8
        .value_kind:     global_buffer
      - .address_space:  global
        .offset:         56
        .size:           8
        .value_kind:     global_buffer
      - .address_space:  global
        .offset:         64
        .size:           8
        .value_kind:     global_buffer
      - .offset:         72
        .size:           8
        .value_kind:     by_value
      - .offset:         80
        .size:           4
        .value_kind:     by_value
    .group_segment_fixed_size: 32768
    .kernarg_segment_align: 8
    .kernarg_segment_size: 84
    .language:       OpenCL C
    .language_version:
      - 2
      - 0
    .max_flat_workgroup_size: 256
    .name:           _ZN9rocsparseL18csric0_hash_kernelILj256ELj64ELj16E21rocsparse_complex_numIdEEEviPKiS4_PT2_S4_PiS4_S7_S7_d21rocsparse_index_base_
    .private_segment_fixed_size: 0
    .sgpr_count:     32
    .sgpr_spill_count: 0
    .symbol:         _ZN9rocsparseL18csric0_hash_kernelILj256ELj64ELj16E21rocsparse_complex_numIdEEEviPKiS4_PT2_S4_PiS4_S7_S7_d21rocsparse_index_base_.kd
    .uniform_work_group_size: 1
    .uses_dynamic_stack: false
    .vgpr_count:     50
    .vgpr_spill_count: 0
    .wavefront_size: 32
    .workgroup_processor_mode: 1
  - .args:
      - .offset:         0
        .size:           4
        .value_kind:     by_value
      - .actual_access:  read_only
        .address_space:  global
        .offset:         8
        .size:           8
        .value_kind:     global_buffer
      - .actual_access:  read_only
        .address_space:  global
        .offset:         16
        .size:           8
        .value_kind:     global_buffer
      - .address_space:  global
        .offset:         24
        .size:           8
        .value_kind:     global_buffer
      - .actual_access:  read_only
        .address_space:  global
        .offset:         32
        .size:           8
        .value_kind:     global_buffer
      - .address_space:  global
        .offset:         40
        .size:           8
        .value_kind:     global_buffer
      - .actual_access:  read_only
        .address_space:  global
        .offset:         48
        .size:           8
        .value_kind:     global_buffer
      - .address_space:  global
        .offset:         56
        .size:           8
        .value_kind:     global_buffer
      - .address_space:  global
        .offset:         64
        .size:           8
        .value_kind:     global_buffer
      - .offset:         72
        .size:           8
        .value_kind:     by_value
      - .offset:         80
        .size:           4
        .value_kind:     by_value
    .group_segment_fixed_size: 0
    .kernarg_segment_align: 8
    .kernarg_segment_size: 84
    .language:       OpenCL C
    .language_version:
      - 2
      - 0
    .max_flat_workgroup_size: 256
    .name:           _ZN9rocsparseL23csric0_binsearch_kernelILj256ELj64ELb0E21rocsparse_complex_numIdEEEviPKiS4_PT2_S4_PiS4_S7_S7_d21rocsparse_index_base_
    .private_segment_fixed_size: 0
    .sgpr_count:     30
    .sgpr_spill_count: 0
    .symbol:         _ZN9rocsparseL23csric0_binsearch_kernelILj256ELj64ELb0E21rocsparse_complex_numIdEEEviPKiS4_PT2_S4_PiS4_S7_S7_d21rocsparse_index_base_.kd
    .uniform_work_group_size: 1
    .uses_dynamic_stack: false
    .vgpr_count:     45
    .vgpr_spill_count: 0
    .wavefront_size: 32
    .workgroup_processor_mode: 1
amdhsa.target:   amdgcn-amd-amdhsa--gfx1030
amdhsa.version:
  - 1
  - 2
...

	.end_amdgpu_metadata
